;; amdgpu-corpus repo=ROCm/aiter kind=harvested arch=n/a opt=n/a

/root/src/amdgpu-assembly/repos/ROCm__aiter/hsa/gfx950/f4gemm/f4gemm_bf16_per1x32Fp4_BpreShuffle_128x512.co:	file format elf64-amdgpu

Disassembly of section .text:

0000000000002c00 <_ZN5aiter42f4gemm_bf16_per1x32Fp4_BpreShuffle_128x512E>:
	s_and_b32 s1, s1, 0xffff                                   // 000000002C00: 8601FF01 0000FFFF
	s_mov_b32 s47, s2                                          // 000000002C08: BEAF0002
	s_mov_b32 s48, s3                                          // 000000002C0C: BEB00003
	s_mov_b32 s64, s4                                          // 000000002C10: BEC00004
	s_load_dwordx2 s[4:5], s[0:1], 0x0                         // 000000002C14: C0060100 00000000
	s_load_dwordx2 s[8:9], s[0:1], 0x10                        // 000000002C1C: C0060200 00000010
	s_load_dwordx2 s[12:13], s[0:1], 0x20                      // 000000002C24: C0060300 00000020
	s_load_dwordx2 s[16:17], s[0:1], 0x30                      // 000000002C2C: C0060400 00000030
	s_load_dword s41, s[0:1], 0x40                             // 000000002C34: C0020A40 00000040
	s_load_dword s42, s[0:1], 0x50                             // 000000002C3C: C0020A80 00000050
	s_load_dword s36, s[0:1], 0x80                             // 000000002C44: C0020900 00000080
	s_load_dword s37, s[0:1], 0xa0                             // 000000002C4C: C0020940 000000A0
	s_load_dword s38, s[0:1], 0xc0                             // 000000002C54: C0020980 000000C0
	s_load_dword s43, s[0:1], 0xe0                             // 000000002C5C: C0020AC0 000000E0
	s_load_dword s44, s[0:1], 0xf0                             // 000000002C64: C0020B00 000000F0
	s_load_dword s45, s[0:1], 0x100                            // 000000002C6C: C0020B40 00000100
	s_load_dwordx2 s[20:21], s[0:1], 0x110                     // 000000002C74: C0060500 00000110
	s_load_dwordx2 s[24:25], s[0:1], 0x120                     // 000000002C7C: C0060600 00000120
	s_load_dword s39, s[0:1], 0x130                            // 000000002C84: C00209C0 00000130
	s_load_dword s40, s[0:1], 0x150                            // 000000002C8C: C0020A00 00000150
	s_load_dword s65, s[0:1], 0x170                            // 000000002C94: C0021040 00000170
	v_lshrrev_b32_e32 v1, 10, v0                               // 000000002C9C: 2002008A
	v_lshrrev_b32_e32 v2, 10, v1                               // 000000002CA0: 2004028A
	v_and_b32_e32 v2, 0x3ff, v2                                // 000000002CA4: 260404FF 000003FF
	v_and_b32_e32 v1, 0x3ff, v1                                // 000000002CAC: 260202FF 000003FF
	v_and_b32_e32 v0, 0x3ff, v0                                // 000000002CB4: 260000FF 000003FF
	v_lshrrev_b32_e32 v3, 6, v0                                // 000000002CBC: 20060086
	v_and_b32_e32 v0, 63, v0                                   // 000000002CC0: 260000BF
	v_readfirstlane_b32 s46, v3                                // 000000002CC4: 7E5C0503
	s_waitcnt lgkmcnt(0)                                       // 000000002CC8: BF8CC07F
	s_mov_b32 s6, -16                                          // 000000002CCC: BE8600D0
	s_mov_b32 s10, -16                                         // 000000002CD0: BE8A00D0
	s_mov_b32 s18, -16                                         // 000000002CD4: BE9200D0
	s_mov_b32 s14, -16                                         // 000000002CD8: BE8E00D0
	s_mov_b32 s22, -16                                         // 000000002CDC: BE9600D0
	s_mov_b32 s26, -16                                         // 000000002CE0: BE9A00D0
	s_mov_b32 s7, 0x20000                                      // 000000002CE4: BE8700FF 00020000
	s_mov_b32 s11, 0x20000                                     // 000000002CEC: BE8B00FF 00020000
	s_mov_b32 s19, 0x20000                                     // 000000002CF4: BE9300FF 00020000
	s_mov_b32 s15, 0x20000                                     // 000000002CFC: BE8F00FF 00020000
	s_mov_b32 s23, 0x20000                                     // 000000002D04: BE9700FF 00020000
	s_mov_b32 s27, 0x20000                                     // 000000002D0C: BE9B00FF 00020000
	s_and_b32 s5, s5, 0xffff                                   // 000000002D14: 8605FF05 0000FFFF
	s_and_b32 s9, s9, 0xffff                                   // 000000002D1C: 8609FF09 0000FFFF
	s_and_b32 s17, s17, 0xffff                                 // 000000002D24: 8611FF11 0000FFFF
	s_and_b32 s13, s13, 0xffff                                 // 000000002D2C: 860DFF0D 0000FFFF
	s_and_b32 s21, s21, 0xffff                                 // 000000002D34: 8615FF15 0000FFFF
	s_and_b32 s25, s25, 0xffff                                 // 000000002D3C: 8619FF19 0000FFFF
	s_or_b32 s5, s5, 0x40000                                   // 000000002D44: 8705FF05 00040000
	s_or_b32 s9, s9, 0x40000                                   // 000000002D4C: 8709FF09 00040000
	s_or_b32 s17, s17, 0x40000                                 // 000000002D54: 8711FF11 00040000
	s_or_b32 s13, s13, 0x40000                                 // 000000002D5C: 870DFF0D 00040000
	s_or_b32 s21, s21, 0x40000                                 // 000000002D64: 8715FF15 00040000
	s_or_b32 s25, s25, 0x40000                                 // 000000002D6C: 8719FF19 00040000
	s_cmp_gt_i32 s65, 0                                        // 000000002D74: BF028041
	s_cbranch_scc0 label_0068                                  // 000000002D78: BF840009
	s_lshr_b32 s66, s45, s65                                   // 000000002D7C: 8F42412D
	s_add_u32 s66, s66, 0xff                                   // 000000002D80: 8042FF42 000000FF
	s_lshr_b32 s66, s66, 8                                     // 000000002D88: 8F428842
	s_lshl_b32 s66, s66, 8                                     // 000000002D8C: 8E428842
	s_mul_i32 s63, s66, s64                                    // 000000002D90: 923F4042
	s_sub_i32 s62, s45, s63                                    // 000000002D94: 81BE3F2D
	s_cmp_lt_i32 s62, s66                                      // 000000002D98: BF04423E
	s_cselect_b32 s45, s62, s66                                // 000000002D9C: 852D423E

0000000000002da0 <label_0068>:
	s_lshr_b32 s37, s37, 1                                     // 000000002DA0: 8F258125
	s_mul_i32 s62, s48, 0x80                                   // 000000002DA4: 923EFF30 00000080
	s_mul_hi_u32 s63, s37, s62                                 // 000000002DAC: 963F3E25
	s_add_u32 s13, s13, s63                                    // 000000002DB0: 800D3F0D
	s_mul_i32 s63, s37, s62                                    // 000000002DB4: 923F3E25
	s_add_u32 s12, s12, s63                                    // 000000002DB8: 800C3F0C
	s_addc_u32 s13, s13, 0                                     // 000000002DBC: 820D800D
	s_sub_i32 s63, s43, s62                                    // 000000002DC0: 81BF3E2B
	s_cmp_lt_u32 s63, 0x80                                     // 000000002DC4: BF0AFF3F 00000080
	s_cselect_b32 s62, s63, 0x80                               // 000000002DCC: 853EFF3F 00000080
	s_mul_i32 s63, s37, s62                                    // 000000002DD4: 923F3E25
	s_mov_b32 s14, s63                                         // 000000002DD8: BE8E003F
	s_mov_b32 s15, 0x20000                                     // 000000002DDC: BE8F00FF 00020000
	s_cmp_gt_i32 s65, 0                                        // 000000002DE4: BF028041
	s_cbranch_scc0 label_0080                                  // 000000002DE8: BF840005
	s_mul_i32 s63, s66, s64                                    // 000000002DEC: 923F4042
	s_lshr_b32 s62, s63, 1                                     // 000000002DF0: 8F3E813F
	s_add_u32 s12, s12, s62                                    // 000000002DF4: 800C3E0C
	s_addc_u32 s13, s13, 0                                     // 000000002DF8: 820D800D
	s_sub_u32 s14, s14, s62                                    // 000000002DFC: 808E3E0E

0000000000002e00 <label_0080>:
	v_lshrrev_b32_e32 v4, 3, v0                                // 000000002E00: 20080083
	v_lshrrev_b32_e32 v5, 2, v4                                // 000000002E04: 200A0882
	v_lshlrev_b32_e32 v5, 4, v5                                // 000000002E08: 240A0A84
	v_and_b32_e32 v4, 3, v4                                    // 000000002E0C: 26080883
	v_lshrrev_b32_e32 v6, 1, v4                                // 000000002E10: 200C0881
	v_lshlrev_b32_e32 v6, 2, v6                                // 000000002E14: 240C0C82
	v_add_u32_e32 v5, v5, v6                                   // 000000002E18: 680A0D05
	v_and_b32_e32 v4, 1, v4                                    // 000000002E1C: 26080881
	v_add_u32_e32 v5, v5, v4                                   // 000000002E20: 680A0905
	v_mul_lo_u32 v212, s37, v5                                 // 000000002E24: D28500D4 00020A25
	v_and_b32_e32 v4, 7, v0                                    // 000000002E2C: 26080087
	v_lshlrev_b32_e32 v4, 4, v4                                // 000000002E30: 24080884
	v_add_u32_e32 v212, v4, v212                               // 000000002E34: 69A9A904
	s_lshr_b32 s62, s46, 1                                     // 000000002E38: 8F3E812E
	s_mul_i32 s62, s62, 8                                      // 000000002E3C: 923E883E
	s_and_b32 s63, s46, 1                                      // 000000002E40: 863F812E
	s_mul_i32 s63, s63, 2                                      // 000000002E44: 923F823F
	s_add_u32 s62, s62, s63                                    // 000000002E48: 803E3F3E
	s_mul_i32 s62, s37, s62                                    // 000000002E4C: 923E3E25
	v_add_u32_e32 v212, s62, v212                              // 000000002E50: 69A9A83E
	s_mul_i32 s62, s37, 32                                     // 000000002E54: 923EA025
	v_add_u32_e32 v213, s62, v212                              // 000000002E58: 69ABA83E
	v_add_u32_e32 v214, s62, v213                              // 000000002E5C: 69ADAA3E
	v_add_u32_e32 v215, s62, v214                              // 000000002E60: 69AFAC3E
	s_mul_i32 s67, 0x420, s46                                  // 000000002E64: 92432EFF 00000420
	s_add_u32 s67, 0x800, s67                                  // 000000002E6C: 804343FF 00000800
	v_and_b32_e32 v4, 15, v0                                   // 000000002E74: 2608008F
	v_lshrrev_b32_e32 v5, 3, v4                                // 000000002E78: 200A0883
	v_mul_i32_i24_e32 v5, 2, v5                                // 000000002E7C: 0C0A0A82
	v_and_b32_e32 v4, 3, v0                                    // 000000002E80: 26080083
	v_lshrrev_b32_e32 v6, 1, v4                                // 000000002E84: 200C0881
	v_add_u32_e32 v4, v5, v6                                   // 000000002E88: 68080D05
	v_mul_i32_i24_e32 v216, 0x420, v4                          // 000000002E8C: 0DB008FF 00000420
	v_and_b32_e32 v4, 7, v0                                    // 000000002E94: 26080087
	v_lshrrev_b32_e32 v5, 2, v4                                // 000000002E98: 200A0882
	v_mul_i32_i24_e32 v5, 0x100, v5                            // 000000002E9C: 0C0A0AFF 00000100
	v_add_u32_e32 v216, v5, v216                               // 000000002EA4: 69B1B105
	v_and_b32_e32 v4, 1, v0                                    // 000000002EA8: 26080081
	v_mul_i32_i24_e32 v6, 0x80, v4                             // 000000002EAC: 0C0C08FF 00000080
	v_add_u32_e32 v216, v6, v216                               // 000000002EB4: 69B1B106
	v_lshrrev_b32_e32 v4, 4, v0                                // 000000002EB8: 20080084
	v_mul_i32_i24_e32 v4, 16, v4                               // 000000002EBC: 0C080890
	v_add_u32_e32 v216, v4, v216                               // 000000002EC0: 69B1B104
	s_mov_b32 s62, 0x800                                       // 000000002EC4: BEBE00FF 00000800
	v_add_u32_e64 v216, v216, s62                              // 000000002ECC: D13400D8 00007DD8
	v_add_u32_e32 v217, 0x4200, v216                           // 000000002ED4: 69B3B0FF 00004200
	s_mul_i32 s62, s48, 0x80                                   // 000000002EDC: 923EFF30 00000080
	s_mul_hi_u32 s63, s39, s62                                 // 000000002EE4: 963F3E27
	s_add_u32 s21, s21, s63                                    // 000000002EE8: 80153F15
	s_mul_i32 s63, s39, s62                                    // 000000002EEC: 923F3E27
	s_add_u32 s20, s20, s63                                    // 000000002EF0: 80143F14
	s_addc_u32 s21, s21, 0                                     // 000000002EF4: 82158015
	s_add_u32 s63, s43, 31                                     // 000000002EF8: 803F9F2B
	s_lshr_b32 s63, s63, 5                                     // 000000002EFC: 8F3F853F
	s_lshl_b32 s63, s63, 5                                     // 000000002F00: 8E3F853F
	s_sub_i32 s63, s63, s62                                    // 000000002F04: 81BF3E3F
	s_cmp_lt_u32 s63, 0x80                                     // 000000002F08: BF0AFF3F 00000080
	s_cselect_b32 s62, s63, 0x80                               // 000000002F10: 853EFF3F 00000080
	s_mul_i32 s63, s39, s62                                    // 000000002F18: 923F3E27
	s_mov_b32 s22, s63                                         // 000000002F1C: BE96003F
	s_mov_b32 s23, 0x20000                                     // 000000002F20: BE9700FF 00020000
	s_cmp_gt_i32 s65, 0                                        // 000000002F28: BF028041
	s_cbranch_scc0 label_00D0                                  // 000000002F2C: BF840004
	s_mul_i32 s63, s66, s64                                    // 000000002F30: 923F4042
	s_add_u32 s20, s20, s63                                    // 000000002F34: 80143F14
	s_addc_u32 s21, s21, 0                                     // 000000002F38: 82158015
	s_sub_u32 s22, s22, s63                                    // 000000002F3C: 80963F16

0000000000002f40 <label_00D0>:
	v_lshlrev_b32_e32 v218, 2, v0                              // 000000002F40: 25B40082
	s_mul_i32 s63, s46, 32                                     // 000000002F44: 923FA02E
	s_mul_i32 s63, s63, s39                                    // 000000002F48: 923F273F
	v_add_u32_e32 v218, s63, v218                              // 000000002F4C: 69B5B43F
	s_mul_i32 s68, s46, 0x100                                  // 000000002F50: 9244FF2E 00000100
	s_add_i32 s68, s68, 0                                      // 000000002F58: 81448044
	v_lshlrev_b32_e32 v219, 2, v0                              // 000000002F5C: 25B60082
	v_add_u32_e32 v219, 0, v219                                // 000000002F60: 69B7B680
	s_lshr_b32 s38, s38, 1                                     // 000000002F64: 8F268126
	s_mul_i32 s62, s47, 0x200                                  // 000000002F68: 923EFF2F 00000200
	s_mul_hi_u32 s63, s38, s62                                 // 000000002F70: 963F3E26
	s_add_u32 s17, s17, s63                                    // 000000002F74: 80113F11
	s_mul_i32 s63, s38, s62                                    // 000000002F78: 923F3E26
	s_add_u32 s16, s16, s63                                    // 000000002F7C: 80103F10
	s_addc_u32 s17, s17, 0                                     // 000000002F80: 82118011
	s_sub_i32 s63, s44, s62                                    // 000000002F84: 81BF3E2C
	s_cmp_lt_u32 s63, 0x200                                    // 000000002F88: BF0AFF3F 00000200
	s_cselect_b32 s62, s63, 0x200                              // 000000002F90: 853EFF3F 00000200
	s_mul_i32 s63, s38, s62                                    // 000000002F98: 923F3E26
	s_mov_b32 s18, s63                                         // 000000002F9C: BE92003F
	s_mov_b32 s19, 0x20000                                     // 000000002FA0: BE9300FF 00020000
	s_cmp_gt_i32 s65, 0                                        // 000000002FA8: BF028041
	s_cbranch_scc0 label_00F2                                  // 000000002FAC: BF840006
	s_mul_i32 s63, s66, s64                                    // 000000002FB0: 923F4042
	s_lshr_b32 s62, s63, 1                                     // 000000002FB4: 8F3E813F
	s_mul_i32 s62, s62, 16                                     // 000000002FB8: 923E903E
	s_add_u32 s16, s16, s62                                    // 000000002FBC: 80103E10
	s_addc_u32 s17, s17, 0                                     // 000000002FC0: 82118011
	s_sub_u32 s18, s18, s62                                    // 000000002FC4: 80923E12

0000000000002fc8 <label_00F2>:
	v_lshlrev_b32_e32 v220, 4, v0                              // 000000002FC8: 25B80084
	s_mul_i32 s63, s46, 0x80                                   // 000000002FCC: 923FFF2E 00000080
	s_mul_i32 s62, s63, s38                                    // 000000002FD4: 923E263F
	v_add_u32_e32 v220, s62, v220                              // 000000002FD8: 69B9B83E
	s_mul_i32 s62, 16, s38                                     // 000000002FDC: 923E2690
	v_add_u32_e32 v221, s62, v220                              // 000000002FE0: 69BBB83E
	v_add_u32_e32 v222, s62, v221                              // 000000002FE4: 69BDBA3E
	v_add_u32_e32 v223, s62, v222                              // 000000002FE8: 69BFBC3E
	v_add_u32_e32 v224, 0x400, v220                            // 000000002FEC: 69C1B8FF 00000400
	v_add_u32_e32 v225, 0x400, v221                            // 000000002FF4: 69C3BAFF 00000400
	v_add_u32_e32 v226, 0x400, v222                            // 000000002FFC: 69C5BCFF 00000400
	v_add_u32_e32 v227, 0x400, v223                            // 000000003004: 69C7BEFF 00000400
	s_mul_i32 s62, 64, s38                                     // 00000000300C: 923E26C0
	v_add_u32_e32 v228, s62, v220                              // 000000003010: 69C9B83E
	v_add_u32_e32 v229, s62, v221                              // 000000003014: 69CBBA3E
	v_add_u32_e32 v230, s62, v222                              // 000000003018: 69CDBC3E
	v_add_u32_e32 v231, s62, v223                              // 00000000301C: 69CFBE3E
	v_add_u32_e32 v232, s62, v224                              // 000000003020: 69D1C03E
	v_add_u32_e32 v233, s62, v225                              // 000000003024: 69D3C23E
	v_add_u32_e32 v234, s62, v226                              // 000000003028: 69D5C43E
	v_add_u32_e32 v235, s62, v227                              // 00000000302C: 69D7C63E
	s_mul_i32 s62, s47, 0x200                                  // 000000003030: 923EFF2F 00000200
	s_mul_hi_u32 s63, s40, s62                                 // 000000003038: 963F3E28
	s_add_u32 s25, s25, s63                                    // 00000000303C: 80193F19
	s_mul_i32 s63, s40, s62                                    // 000000003040: 923F3E28
	s_add_u32 s24, s24, s63                                    // 000000003044: 80183F18
	s_addc_u32 s25, s25, 0                                     // 000000003048: 82198019
	s_sub_i32 s63, s44, s62                                    // 00000000304C: 81BF3E2C
	s_cmp_lt_u32 s63, 0x200                                    // 000000003050: BF0AFF3F 00000200
	s_cselect_b32 s62, s63, 0x200                              // 000000003058: 853EFF3F 00000200
	s_mul_i32 s63, s40, s62                                    // 000000003060: 923F3E28
	s_mov_b32 s26, s63                                         // 000000003064: BE9A003F
	s_mov_b32 s27, 0x20000                                     // 000000003068: BE9B00FF 00020000
	s_cmp_gt_i32 s65, 0                                        // 000000003070: BF028041
	s_cbranch_scc0 label_0122                                  // 000000003074: BF840004
	s_mul_i32 s63, s66, s64                                    // 000000003078: 923F4042
	s_add_u32 s24, s24, s63                                    // 00000000307C: 80183F18
	s_addc_u32 s25, s25, 0                                     // 000000003080: 82198019
	s_sub_u32 s26, s26, s63                                    // 000000003084: 809A3F1A

0000000000003088 <label_0122>:
	v_lshlrev_b32_e32 v236, 2, v0                              // 000000003088: 25D80082
	s_mul_i32 s63, s46, 0x80                                   // 00000000308C: 923FFF2E 00000080
	s_mul_i32 s63, s63, s40                                    // 000000003094: 923F283F
	v_add_u32_e32 v236, s63, v236                              // 000000003098: 69D9D83F
	s_mul_i32 s62, 32, s40                                     // 00000000309C: 923E28A0
	v_add_u32_e32 v237, s62, v236                              // 0000000030A0: 69DBD83E
	v_add_u32_e32 v238, s62, v237                              // 0000000030A4: 69DDDA3E
	v_add_u32_e32 v239, s62, v238                              // 0000000030A8: 69DFDC3E
	s_mov_b32 s69, 0x80                                        // 0000000030AC: BEC500FF 00000080
	s_mov_b32 s70, 0x800                                       // 0000000030B4: BEC600FF 00000800
	s_mov_b32 s71, 0x100                                       // 0000000030BC: BEC700FF 00000100
	s_mov_b32 s72, 0x100                                       // 0000000030C4: BEC800FF 00000100
	s_mov_b32 s60, 0                                           // 0000000030CC: BEBC0080
	s_mov_b32 s61, s45                                         // 0000000030D0: BEBD002D
	s_add_u32 m0, 0, s67                                       // 0000000030D4: 807C4380
	buffer_load_dwordx4 v212, s[12:15], 0 offen lds            // 0000000030D8: E05D1000 800300D4
	v_accvgpr_write_b32 a0, 0                                  // 0000000030E0: D3D94000 18000080
	v_accvgpr_write_b32 a1, 0                                  // 0000000030E8: D3D94001 18000080
	v_accvgpr_write_b32 a2, 0                                  // 0000000030F0: D3D94002 18000080
	v_accvgpr_write_b32 a3, 0                                  // 0000000030F8: D3D94003 18000080
	v_accvgpr_write_b32 a4, 0                                  // 000000003100: D3D94004 18000080
	v_accvgpr_write_b32 a5, 0                                  // 000000003108: D3D94005 18000080
	v_accvgpr_write_b32 a6, 0                                  // 000000003110: D3D94006 18000080
	v_accvgpr_write_b32 a7, 0                                  // 000000003118: D3D94007 18000080
	s_add_u32 m0, 0x1080, s67                                  // 000000003120: 807C43FF 00001080
	buffer_load_dwordx4 v213, s[12:15], 0 offen lds            // 000000003128: E05D1000 800300D5
	v_accvgpr_write_b32 a8, 0                                  // 000000003130: D3D94008 18000080
	v_accvgpr_write_b32 a9, 0                                  // 000000003138: D3D94009 18000080
	v_accvgpr_write_b32 a10, 0                                 // 000000003140: D3D9400A 18000080
	v_accvgpr_write_b32 a11, 0                                 // 000000003148: D3D9400B 18000080
	v_accvgpr_write_b32 a12, 0                                 // 000000003150: D3D9400C 18000080
	v_accvgpr_write_b32 a13, 0                                 // 000000003158: D3D9400D 18000080
	v_accvgpr_write_b32 a14, 0                                 // 000000003160: D3D9400E 18000080
	v_accvgpr_write_b32 a15, 0                                 // 000000003168: D3D9400F 18000080
	s_add_u32 m0, 0, s68                                       // 000000003170: 807C4480
	buffer_load_dword v218, s[20:23], 0 offen lds              // 000000003174: E0511000 800500DA
	v_accvgpr_write_b32 a16, 0                                 // 00000000317C: D3D94010 18000080
	v_accvgpr_write_b32 a17, 0                                 // 000000003184: D3D94011 18000080
	v_accvgpr_write_b32 a18, 0                                 // 00000000318C: D3D94012 18000080
	v_accvgpr_write_b32 a19, 0                                 // 000000003194: D3D94013 18000080
	v_accvgpr_write_b32 a20, 0                                 // 00000000319C: D3D94014 18000080
	v_accvgpr_write_b32 a21, 0                                 // 0000000031A4: D3D94015 18000080
	v_accvgpr_write_b32 a22, 0                                 // 0000000031AC: D3D94016 18000080
	v_accvgpr_write_b32 a23, 0                                 // 0000000031B4: D3D94017 18000080
	s_add_u32 m0, 0x2100, s67                                  // 0000000031BC: 807C43FF 00002100
	buffer_load_dwordx4 v214, s[12:15], 0 offen lds            // 0000000031C4: E05D1000 800300D6
	v_accvgpr_write_b32 a24, 0                                 // 0000000031CC: D3D94018 18000080
	v_accvgpr_write_b32 a25, 0                                 // 0000000031D4: D3D94019 18000080
	v_accvgpr_write_b32 a26, 0                                 // 0000000031DC: D3D9401A 18000080
	v_accvgpr_write_b32 a27, 0                                 // 0000000031E4: D3D9401B 18000080
	v_accvgpr_write_b32 a28, 0                                 // 0000000031EC: D3D9401C 18000080
	v_accvgpr_write_b32 a29, 0                                 // 0000000031F4: D3D9401D 18000080
	v_accvgpr_write_b32 a30, 0                                 // 0000000031FC: D3D9401E 18000080
	v_accvgpr_write_b32 a31, 0                                 // 000000003204: D3D9401F 18000080
	s_add_u32 m0, 0x3180, s67                                  // 00000000320C: 807C43FF 00003180
	buffer_load_dwordx4 v215, s[12:15], 0 offen lds            // 000000003214: E05D1000 800300D7
	v_accvgpr_write_b32 a32, 0                                 // 00000000321C: D3D94020 18000080
	v_accvgpr_write_b32 a33, 0                                 // 000000003224: D3D94021 18000080
	v_accvgpr_write_b32 a34, 0                                 // 00000000322C: D3D94022 18000080
	v_accvgpr_write_b32 a35, 0                                 // 000000003234: D3D94023 18000080
	v_accvgpr_write_b32 a36, 0                                 // 00000000323C: D3D94024 18000080
	v_accvgpr_write_b32 a37, 0                                 // 000000003244: D3D94025 18000080
	v_accvgpr_write_b32 a38, 0                                 // 00000000324C: D3D94026 18000080
	v_accvgpr_write_b32 a39, 0                                 // 000000003254: D3D94027 18000080
	s_add_u32 s62, 0x100, s60                                  // 00000000325C: 803E3CFF 00000100
	s_cmp_lt_u32 s62, s61                                      // 000000003264: BF0A3D3E
	s_cselect_b32 s69, s69, 0                                  // 000000003268: 85458045
	s_cselect_b32 s71, s71, 0                                  // 00000000326C: 85478047
	s_add_u32 s12, s12, s69                                    // 000000003270: 800C450C
	s_addc_u32 s13, 0, s13                                     // 000000003274: 820D0D80
	s_sub_u32 s14, s14, s69                                    // 000000003278: 808E450E
	s_add_u32 s20, s20, s71                                    // 00000000327C: 80144714
	s_addc_u32 s21, 0, s21                                     // 000000003280: 82151580
	s_sub_u32 s22, s22, s71                                    // 000000003284: 80964716
	buffer_load_dwordx4 v[72:75], v220, s[16:19], 0 offen      // 000000003288: E05C1000 800448DC
	v_accvgpr_write_b32 a40, 0                                 // 000000003290: D3D94028 18000080
	v_accvgpr_write_b32 a41, 0                                 // 000000003298: D3D94029 18000080
	v_accvgpr_write_b32 a42, 0                                 // 0000000032A0: D3D9402A 18000080
	v_accvgpr_write_b32 a43, 0                                 // 0000000032A8: D3D9402B 18000080
	v_accvgpr_write_b32 a44, 0                                 // 0000000032B0: D3D9402C 18000080
	v_accvgpr_write_b32 a45, 0                                 // 0000000032B8: D3D9402D 18000080
	v_accvgpr_write_b32 a46, 0                                 // 0000000032C0: D3D9402E 18000080
	v_accvgpr_write_b32 a47, 0                                 // 0000000032C8: D3D9402F 18000080
	buffer_load_dwordx4 v[76:79], v221, s[16:19], 0 offen      // 0000000032D0: E05C1000 80044CDD
	v_accvgpr_write_b32 a48, 0                                 // 0000000032D8: D3D94030 18000080
	v_accvgpr_write_b32 a49, 0                                 // 0000000032E0: D3D94031 18000080
	v_accvgpr_write_b32 a50, 0                                 // 0000000032E8: D3D94032 18000080
	v_accvgpr_write_b32 a51, 0                                 // 0000000032F0: D3D94033 18000080
	v_accvgpr_write_b32 a52, 0                                 // 0000000032F8: D3D94034 18000080
	v_accvgpr_write_b32 a53, 0                                 // 000000003300: D3D94035 18000080
	v_accvgpr_write_b32 a54, 0                                 // 000000003308: D3D94036 18000080
	v_accvgpr_write_b32 a55, 0                                 // 000000003310: D3D94037 18000080
	buffer_load_dwordx4 v[80:83], v222, s[16:19], 0 offen      // 000000003318: E05C1000 800450DE
	v_accvgpr_write_b32 a56, 0                                 // 000000003320: D3D94038 18000080
	v_accvgpr_write_b32 a57, 0                                 // 000000003328: D3D94039 18000080
	v_accvgpr_write_b32 a58, 0                                 // 000000003330: D3D9403A 18000080
	v_accvgpr_write_b32 a59, 0                                 // 000000003338: D3D9403B 18000080
	v_accvgpr_write_b32 a60, 0                                 // 000000003340: D3D9403C 18000080
	v_accvgpr_write_b32 a61, 0                                 // 000000003348: D3D9403D 18000080
	v_accvgpr_write_b32 a62, 0                                 // 000000003350: D3D9403E 18000080
	v_accvgpr_write_b32 a63, 0                                 // 000000003358: D3D9403F 18000080
	buffer_load_dwordx4 v[84:87], v223, s[16:19], 0 offen      // 000000003360: E05C1000 800454DF
	v_accvgpr_write_b32 a64, 0                                 // 000000003368: D3D94040 18000080
	v_accvgpr_write_b32 a65, 0                                 // 000000003370: D3D94041 18000080
	v_accvgpr_write_b32 a66, 0                                 // 000000003378: D3D94042 18000080
	v_accvgpr_write_b32 a67, 0                                 // 000000003380: D3D94043 18000080
	v_accvgpr_write_b32 a68, 0                                 // 000000003388: D3D94044 18000080
	v_accvgpr_write_b32 a69, 0                                 // 000000003390: D3D94045 18000080
	v_accvgpr_write_b32 a70, 0                                 // 000000003398: D3D94046 18000080
	v_accvgpr_write_b32 a71, 0                                 // 0000000033A0: D3D94047 18000080
	buffer_load_dwordx4 v[88:91], v224, s[16:19], 0 offen      // 0000000033A8: E05C1000 800458E0
	v_accvgpr_write_b32 a72, 0                                 // 0000000033B0: D3D94048 18000080
	v_accvgpr_write_b32 a73, 0                                 // 0000000033B8: D3D94049 18000080
	v_accvgpr_write_b32 a74, 0                                 // 0000000033C0: D3D9404A 18000080
	v_accvgpr_write_b32 a75, 0                                 // 0000000033C8: D3D9404B 18000080
	v_accvgpr_write_b32 a76, 0                                 // 0000000033D0: D3D9404C 18000080
	v_accvgpr_write_b32 a77, 0                                 // 0000000033D8: D3D9404D 18000080
	v_accvgpr_write_b32 a78, 0                                 // 0000000033E0: D3D9404E 18000080
	v_accvgpr_write_b32 a79, 0                                 // 0000000033E8: D3D9404F 18000080
	buffer_load_dwordx4 v[92:95], v225, s[16:19], 0 offen      // 0000000033F0: E05C1000 80045CE1
	v_accvgpr_write_b32 a80, 0                                 // 0000000033F8: D3D94050 18000080
	v_accvgpr_write_b32 a81, 0                                 // 000000003400: D3D94051 18000080
	v_accvgpr_write_b32 a82, 0                                 // 000000003408: D3D94052 18000080
	v_accvgpr_write_b32 a83, 0                                 // 000000003410: D3D94053 18000080
	v_accvgpr_write_b32 a84, 0                                 // 000000003418: D3D94054 18000080
	v_accvgpr_write_b32 a85, 0                                 // 000000003420: D3D94055 18000080
	v_accvgpr_write_b32 a86, 0                                 // 000000003428: D3D94056 18000080
	v_accvgpr_write_b32 a87, 0                                 // 000000003430: D3D94057 18000080
	buffer_load_dwordx4 v[96:99], v226, s[16:19], 0 offen      // 000000003438: E05C1000 800460E2
	v_accvgpr_write_b32 a88, 0                                 // 000000003440: D3D94058 18000080
	v_accvgpr_write_b32 a89, 0                                 // 000000003448: D3D94059 18000080
	v_accvgpr_write_b32 a90, 0                                 // 000000003450: D3D9405A 18000080
	v_accvgpr_write_b32 a91, 0                                 // 000000003458: D3D9405B 18000080
	v_accvgpr_write_b32 a92, 0                                 // 000000003460: D3D9405C 18000080
	v_accvgpr_write_b32 a93, 0                                 // 000000003468: D3D9405D 18000080
	v_accvgpr_write_b32 a94, 0                                 // 000000003470: D3D9405E 18000080
	v_accvgpr_write_b32 a95, 0                                 // 000000003478: D3D9405F 18000080
	buffer_load_dwordx4 v[100:103], v227, s[16:19], 0 offen    // 000000003480: E05C1000 800464E3
	v_accvgpr_write_b32 a96, 0                                 // 000000003488: D3D94060 18000080
	v_accvgpr_write_b32 a97, 0                                 // 000000003490: D3D94061 18000080
	v_accvgpr_write_b32 a98, 0                                 // 000000003498: D3D94062 18000080
	v_accvgpr_write_b32 a99, 0                                 // 0000000034A0: D3D94063 18000080
	v_accvgpr_write_b32 a100, 0                                // 0000000034A8: D3D94064 18000080
	v_accvgpr_write_b32 a101, 0                                // 0000000034B0: D3D94065 18000080
	v_accvgpr_write_b32 a102, 0                                // 0000000034B8: D3D94066 18000080
	v_accvgpr_write_b32 a103, 0                                // 0000000034C0: D3D94067 18000080
	buffer_load_dword v204, v236, s[24:27], 0 offen            // 0000000034C8: E0501000 8006CCEC
	v_accvgpr_write_b32 a104, 0                                // 0000000034D0: D3D94068 18000080
	v_accvgpr_write_b32 a105, 0                                // 0000000034D8: D3D94069 18000080
	v_accvgpr_write_b32 a106, 0                                // 0000000034E0: D3D9406A 18000080
	v_accvgpr_write_b32 a107, 0                                // 0000000034E8: D3D9406B 18000080
	v_accvgpr_write_b32 a108, 0                                // 0000000034F0: D3D9406C 18000080
	v_accvgpr_write_b32 a109, 0                                // 0000000034F8: D3D9406D 18000080
	v_accvgpr_write_b32 a110, 0                                // 000000003500: D3D9406E 18000080
	v_accvgpr_write_b32 a111, 0                                // 000000003508: D3D9406F 18000080
	buffer_load_dword v205, v237, s[24:27], 0 offen            // 000000003510: E0501000 8006CDED
	v_accvgpr_write_b32 a112, 0                                // 000000003518: D3D94070 18000080
	v_accvgpr_write_b32 a113, 0                                // 000000003520: D3D94071 18000080
	v_accvgpr_write_b32 a114, 0                                // 000000003528: D3D94072 18000080
	v_accvgpr_write_b32 a115, 0                                // 000000003530: D3D94073 18000080
	v_accvgpr_write_b32 a116, 0                                // 000000003538: D3D94074 18000080
	v_accvgpr_write_b32 a117, 0                                // 000000003540: D3D94075 18000080
	v_accvgpr_write_b32 a118, 0                                // 000000003548: D3D94076 18000080
	v_accvgpr_write_b32 a119, 0                                // 000000003550: D3D94077 18000080
	buffer_load_dwordx4 v[104:107], v228, s[16:19], 0 offen    // 000000003558: E05C1000 800468E4
	v_accvgpr_write_b32 a120, 0                                // 000000003560: D3D94078 18000080
	v_accvgpr_write_b32 a121, 0                                // 000000003568: D3D94079 18000080
	v_accvgpr_write_b32 a122, 0                                // 000000003570: D3D9407A 18000080
	v_accvgpr_write_b32 a123, 0                                // 000000003578: D3D9407B 18000080
	v_accvgpr_write_b32 a124, 0                                // 000000003580: D3D9407C 18000080
	v_accvgpr_write_b32 a125, 0                                // 000000003588: D3D9407D 18000080
	v_accvgpr_write_b32 a126, 0                                // 000000003590: D3D9407E 18000080
	v_accvgpr_write_b32 a127, 0                                // 000000003598: D3D9407F 18000080
	buffer_load_dwordx4 v[108:111], v229, s[16:19], 0 offen    // 0000000035A0: E05C1000 80046CE5
	v_accvgpr_write_b32 a128, 0                                // 0000000035A8: D3D94080 18000080
	v_accvgpr_write_b32 a129, 0                                // 0000000035B0: D3D94081 18000080
	v_accvgpr_write_b32 a130, 0                                // 0000000035B8: D3D94082 18000080
	v_accvgpr_write_b32 a131, 0                                // 0000000035C0: D3D94083 18000080
	v_accvgpr_write_b32 a132, 0                                // 0000000035C8: D3D94084 18000080
	v_accvgpr_write_b32 a133, 0                                // 0000000035D0: D3D94085 18000080
	v_accvgpr_write_b32 a134, 0                                // 0000000035D8: D3D94086 18000080
	v_accvgpr_write_b32 a135, 0                                // 0000000035E0: D3D94087 18000080
	buffer_load_dwordx4 v[112:115], v230, s[16:19], 0 offen    // 0000000035E8: E05C1000 800470E6
	v_accvgpr_write_b32 a136, 0                                // 0000000035F0: D3D94088 18000080
	v_accvgpr_write_b32 a137, 0                                // 0000000035F8: D3D94089 18000080
	v_accvgpr_write_b32 a138, 0                                // 000000003600: D3D9408A 18000080
	v_accvgpr_write_b32 a139, 0                                // 000000003608: D3D9408B 18000080
	v_accvgpr_write_b32 a140, 0                                // 000000003610: D3D9408C 18000080
	v_accvgpr_write_b32 a141, 0                                // 000000003618: D3D9408D 18000080
	v_accvgpr_write_b32 a142, 0                                // 000000003620: D3D9408E 18000080
	v_accvgpr_write_b32 a143, 0                                // 000000003628: D3D9408F 18000080
	buffer_load_dwordx4 v[116:119], v231, s[16:19], 0 offen    // 000000003630: E05C1000 800474E7
	v_accvgpr_write_b32 a144, 0                                // 000000003638: D3D94090 18000080
	v_accvgpr_write_b32 a145, 0                                // 000000003640: D3D94091 18000080
	v_accvgpr_write_b32 a146, 0                                // 000000003648: D3D94092 18000080
	v_accvgpr_write_b32 a147, 0                                // 000000003650: D3D94093 18000080
	v_accvgpr_write_b32 a148, 0                                // 000000003658: D3D94094 18000080
	v_accvgpr_write_b32 a149, 0                                // 000000003660: D3D94095 18000080
	v_accvgpr_write_b32 a150, 0                                // 000000003668: D3D94096 18000080
	v_accvgpr_write_b32 a151, 0                                // 000000003670: D3D94097 18000080
	buffer_load_dwordx4 v[120:123], v232, s[16:19], 0 offen    // 000000003678: E05C1000 800478E8
	v_accvgpr_write_b32 a152, 0                                // 000000003680: D3D94098 18000080
	v_accvgpr_write_b32 a153, 0                                // 000000003688: D3D94099 18000080
	v_accvgpr_write_b32 a154, 0                                // 000000003690: D3D9409A 18000080
	v_accvgpr_write_b32 a155, 0                                // 000000003698: D3D9409B 18000080
	v_accvgpr_write_b32 a156, 0                                // 0000000036A0: D3D9409C 18000080
	v_accvgpr_write_b32 a157, 0                                // 0000000036A8: D3D9409D 18000080
	v_accvgpr_write_b32 a158, 0                                // 0000000036B0: D3D9409E 18000080
	v_accvgpr_write_b32 a159, 0                                // 0000000036B8: D3D9409F 18000080
	buffer_load_dwordx4 v[124:127], v233, s[16:19], 0 offen    // 0000000036C0: E05C1000 80047CE9
	v_accvgpr_write_b32 a160, 0                                // 0000000036C8: D3D940A0 18000080
	v_accvgpr_write_b32 a161, 0                                // 0000000036D0: D3D940A1 18000080
	v_accvgpr_write_b32 a162, 0                                // 0000000036D8: D3D940A2 18000080
	v_accvgpr_write_b32 a163, 0                                // 0000000036E0: D3D940A3 18000080
	v_accvgpr_write_b32 a164, 0                                // 0000000036E8: D3D940A4 18000080
	v_accvgpr_write_b32 a165, 0                                // 0000000036F0: D3D940A5 18000080
	v_accvgpr_write_b32 a166, 0                                // 0000000036F8: D3D940A6 18000080
	v_accvgpr_write_b32 a167, 0                                // 000000003700: D3D940A7 18000080
	buffer_load_dwordx4 v[128:131], v234, s[16:19], 0 offen    // 000000003708: E05C1000 800480EA
	v_accvgpr_write_b32 a168, 0                                // 000000003710: D3D940A8 18000080
	v_accvgpr_write_b32 a169, 0                                // 000000003718: D3D940A9 18000080
	v_accvgpr_write_b32 a170, 0                                // 000000003720: D3D940AA 18000080
	v_accvgpr_write_b32 a171, 0                                // 000000003728: D3D940AB 18000080
	v_accvgpr_write_b32 a172, 0                                // 000000003730: D3D940AC 18000080
	v_accvgpr_write_b32 a173, 0                                // 000000003738: D3D940AD 18000080
	v_accvgpr_write_b32 a174, 0                                // 000000003740: D3D940AE 18000080
	v_accvgpr_write_b32 a175, 0                                // 000000003748: D3D940AF 18000080
	buffer_load_dwordx4 v[132:135], v235, s[16:19], 0 offen    // 000000003750: E05C1000 800484EB
	v_accvgpr_write_b32 a176, 0                                // 000000003758: D3D940B0 18000080
	v_accvgpr_write_b32 a177, 0                                // 000000003760: D3D940B1 18000080
	v_accvgpr_write_b32 a178, 0                                // 000000003768: D3D940B2 18000080
	v_accvgpr_write_b32 a179, 0                                // 000000003770: D3D940B3 18000080
	v_accvgpr_write_b32 a180, 0                                // 000000003778: D3D940B4 18000080
	v_accvgpr_write_b32 a181, 0                                // 000000003780: D3D940B5 18000080
	v_accvgpr_write_b32 a182, 0                                // 000000003788: D3D940B6 18000080
	v_accvgpr_write_b32 a183, 0                                // 000000003790: D3D940B7 18000080
	buffer_load_dword v206, v238, s[24:27], 0 offen            // 000000003798: E0501000 8006CEEE
	v_accvgpr_write_b32 a184, 0                                // 0000000037A0: D3D940B8 18000080
	v_accvgpr_write_b32 a185, 0                                // 0000000037A8: D3D940B9 18000080
	v_accvgpr_write_b32 a186, 0                                // 0000000037B0: D3D940BA 18000080
	v_accvgpr_write_b32 a187, 0                                // 0000000037B8: D3D940BB 18000080
	v_accvgpr_write_b32 a188, 0                                // 0000000037C0: D3D940BC 18000080
	v_accvgpr_write_b32 a189, 0                                // 0000000037C8: D3D940BD 18000080
	v_accvgpr_write_b32 a190, 0                                // 0000000037D0: D3D940BE 18000080
	v_accvgpr_write_b32 a191, 0                                // 0000000037D8: D3D940BF 18000080
	buffer_load_dword v207, v239, s[24:27], 0 offen            // 0000000037E0: E0501000 8006CFEF
	v_accvgpr_write_b32 a192, 0                                // 0000000037E8: D3D940C0 18000080
	v_accvgpr_write_b32 a193, 0                                // 0000000037F0: D3D940C1 18000080
	v_accvgpr_write_b32 a194, 0                                // 0000000037F8: D3D940C2 18000080
	v_accvgpr_write_b32 a195, 0                                // 000000003800: D3D940C3 18000080
	v_accvgpr_write_b32 a196, 0                                // 000000003808: D3D940C4 18000080
	v_accvgpr_write_b32 a197, 0                                // 000000003810: D3D940C5 18000080
	v_accvgpr_write_b32 a198, 0                                // 000000003818: D3D940C6 18000080
	v_accvgpr_write_b32 a199, 0                                // 000000003820: D3D940C7 18000080
	s_add_u32 s63, 0x100, s60                                  // 000000003828: 803F3CFF 00000100
	s_cmp_lt_u32 s63, s61                                      // 000000003830: BF0A3D3F
	s_cselect_b32 s70, s70, 0                                  // 000000003834: 85468046
	s_cselect_b32 s72, s72, 0                                  // 000000003838: 85488048
	s_add_u32 s16, s16, s70                                    // 00000000383C: 80104610
	s_addc_u32 s17, 0, s17                                     // 000000003840: 82111180
	s_sub_u32 s18, s18, s70                                    // 000000003844: 80924612
	s_add_u32 s24, s24, s72                                    // 000000003848: 80184818
	s_addc_u32 s25, 0, s25                                     // 00000000384C: 82191980
	s_sub_u32 s26, s26, s72                                    // 000000003850: 809A481A
	s_add_u32 m0, 0x4200, s67                                  // 000000003854: 807C43FF 00004200
	buffer_load_dwordx4 v212, s[12:15], 0 offen lds            // 00000000385C: E05D1000 800300D4
	v_accvgpr_write_b32 a200, 0                                // 000000003864: D3D940C8 18000080
	v_accvgpr_write_b32 a201, 0                                // 00000000386C: D3D940C9 18000080
	v_accvgpr_write_b32 a202, 0                                // 000000003874: D3D940CA 18000080
	v_accvgpr_write_b32 a203, 0                                // 00000000387C: D3D940CB 18000080
	v_accvgpr_write_b32 a204, 0                                // 000000003884: D3D940CC 18000080
	v_accvgpr_write_b32 a205, 0                                // 00000000388C: D3D940CD 18000080
	v_accvgpr_write_b32 a206, 0                                // 000000003894: D3D940CE 18000080
	v_accvgpr_write_b32 a207, 0                                // 00000000389C: D3D940CF 18000080
	s_add_u32 m0, 0x5280, s67                                  // 0000000038A4: 807C43FF 00005280
	buffer_load_dwordx4 v213, s[12:15], 0 offen lds            // 0000000038AC: E05D1000 800300D5
	v_accvgpr_write_b32 a208, 0                                // 0000000038B4: D3D940D0 18000080
	v_accvgpr_write_b32 a209, 0                                // 0000000038BC: D3D940D1 18000080
	v_accvgpr_write_b32 a210, 0                                // 0000000038C4: D3D940D2 18000080
	v_accvgpr_write_b32 a211, 0                                // 0000000038CC: D3D940D3 18000080
	v_accvgpr_write_b32 a212, 0                                // 0000000038D4: D3D940D4 18000080
	v_accvgpr_write_b32 a213, 0                                // 0000000038DC: D3D940D5 18000080
	v_accvgpr_write_b32 a214, 0                                // 0000000038E4: D3D940D6 18000080
	v_accvgpr_write_b32 a215, 0                                // 0000000038EC: D3D940D7 18000080
	s_add_u32 m0, 0x400, s68                                   // 0000000038F4: 807C44FF 00000400
	buffer_load_dword v218, s[20:23], 0 offen lds              // 0000000038FC: E0511000 800500DA
	v_accvgpr_write_b32 a216, 0                                // 000000003904: D3D940D8 18000080
	v_accvgpr_write_b32 a217, 0                                // 00000000390C: D3D940D9 18000080
	v_accvgpr_write_b32 a218, 0                                // 000000003914: D3D940DA 18000080
	v_accvgpr_write_b32 a219, 0                                // 00000000391C: D3D940DB 18000080
	v_accvgpr_write_b32 a220, 0                                // 000000003924: D3D940DC 18000080
	v_accvgpr_write_b32 a221, 0                                // 00000000392C: D3D940DD 18000080
	v_accvgpr_write_b32 a222, 0                                // 000000003934: D3D940DE 18000080
	v_accvgpr_write_b32 a223, 0                                // 00000000393C: D3D940DF 18000080
	s_add_u32 m0, 0x6300, s67                                  // 000000003944: 807C43FF 00006300
	buffer_load_dwordx4 v214, s[12:15], 0 offen lds            // 00000000394C: E05D1000 800300D6
	v_accvgpr_write_b32 a224, 0                                // 000000003954: D3D940E0 18000080
	v_accvgpr_write_b32 a225, 0                                // 00000000395C: D3D940E1 18000080
	v_accvgpr_write_b32 a226, 0                                // 000000003964: D3D940E2 18000080
	v_accvgpr_write_b32 a227, 0                                // 00000000396C: D3D940E3 18000080
	v_accvgpr_write_b32 a228, 0                                // 000000003974: D3D940E4 18000080
	v_accvgpr_write_b32 a229, 0                                // 00000000397C: D3D940E5 18000080
	v_accvgpr_write_b32 a230, 0                                // 000000003984: D3D940E6 18000080
	v_accvgpr_write_b32 a231, 0                                // 00000000398C: D3D940E7 18000080
	s_add_u32 m0, 0x7380, s67                                  // 000000003994: 807C43FF 00007380
	buffer_load_dwordx4 v215, s[12:15], 0 offen lds            // 00000000399C: E05D1000 800300D7
	v_accvgpr_write_b32 a232, 0                                // 0000000039A4: D3D940E8 18000080
	v_accvgpr_write_b32 a233, 0                                // 0000000039AC: D3D940E9 18000080
	v_accvgpr_write_b32 a234, 0                                // 0000000039B4: D3D940EA 18000080
	v_accvgpr_write_b32 a235, 0                                // 0000000039BC: D3D940EB 18000080
	v_accvgpr_write_b32 a236, 0                                // 0000000039C4: D3D940EC 18000080
	v_accvgpr_write_b32 a237, 0                                // 0000000039CC: D3D940ED 18000080
	v_accvgpr_write_b32 a238, 0                                // 0000000039D4: D3D940EE 18000080
	v_accvgpr_write_b32 a239, 0                                // 0000000039DC: D3D940EF 18000080
	v_accvgpr_write_b32 a240, 0                                // 0000000039E4: D3D940F0 18000080
	v_accvgpr_write_b32 a241, 0                                // 0000000039EC: D3D940F1 18000080
	v_accvgpr_write_b32 a242, 0                                // 0000000039F4: D3D940F2 18000080
	v_accvgpr_write_b32 a243, 0                                // 0000000039FC: D3D940F3 18000080
	v_accvgpr_write_b32 a244, 0                                // 000000003A04: D3D940F4 18000080
	v_accvgpr_write_b32 a245, 0                                // 000000003A0C: D3D940F5 18000080
	v_accvgpr_write_b32 a246, 0                                // 000000003A14: D3D940F6 18000080
	v_accvgpr_write_b32 a247, 0                                // 000000003A1C: D3D940F7 18000080
	v_accvgpr_write_b32 a248, 0                                // 000000003A24: D3D940F8 18000080
	v_accvgpr_write_b32 a249, 0                                // 000000003A2C: D3D940F9 18000080
	v_accvgpr_write_b32 a250, 0                                // 000000003A34: D3D940FA 18000080
	v_accvgpr_write_b32 a251, 0                                // 000000003A3C: D3D940FB 18000080
	v_accvgpr_write_b32 a252, 0                                // 000000003A44: D3D940FC 18000080
	v_accvgpr_write_b32 a253, 0                                // 000000003A4C: D3D940FD 18000080
	v_accvgpr_write_b32 a254, 0                                // 000000003A54: D3D940FE 18000080
	v_accvgpr_write_b32 a255, 0                                // 000000003A5C: D3D940FF 18000080
	s_waitcnt vmcnt(27)                                        // 000000003A64: BF8C4F7B
	s_barrier                                                  // 000000003A68: BF8A0000
	ds_read_b128 v[8:11], v216                                 // 000000003A6C: D9FE0000 080000D8
	ds_read_b128 v[24:27], v216 offset:64                      // 000000003A74: D9FE0040 180000D8
	ds_read_b128 v[12:15], v216 offset:512                     // 000000003A7C: D9FE0200 0C0000D8
	ds_read_b128 v[28:31], v216 offset:576                     // 000000003A84: D9FE0240 1C0000D8
	ds_read_b128 v[16:19], v216 offset:4224                    // 000000003A8C: D9FE1080 100000D8
	ds_read_b128 v[32:35], v216 offset:4288                    // 000000003A94: D9FE10C0 200000D8
	ds_read_b128 v[20:23], v216 offset:4736                    // 000000003A9C: D9FE1280 140000D8
	ds_read_b128 v[36:39], v216 offset:4800                    // 000000003AA4: D9FE12C0 240000D8
	ds_read_b32 v200, v219                                     // 000000003AAC: D86C0000 C80000DB
	ds_read_b32 v201, v219 offset:256                          // 000000003AB4: D86C0100 C90000DB
	s_nop 0                                                    // 000000003ABC: BF800000
	s_nop 0                                                    // 000000003AC0: BF800000
	s_nop 0                                                    // 000000003AC4: BF800000
	s_nop 0                                                    // 000000003AC8: BF800000
	s_nop 0                                                    // 000000003ACC: BF800000
	s_lshl_b32 s36, s36, 1                                     // 000000003AD0: 8E248124
	s_mul_i32 s62, s48, 0x80                                   // 000000003AD4: 923EFF30 00000080
	s_mul_hi_u32 s63, s36, s62                                 // 000000003ADC: 963F3E24
	s_add_u32 s5, s5, s63                                      // 000000003AE0: 80053F05
	s_mul_i32 s63, s36, s62                                    // 000000003AE4: 923F3E24
	s_add_u32 s4, s4, s63                                      // 000000003AE8: 80043F04
	s_addc_u32 s5, s5, 0                                       // 000000003AEC: 82058005
	s_mul_i32 s63, s47, 0x200                                  // 000000003AF0: 923FFF2F 00000200
	s_lshl_b32 s63, s63, 1                                     // 000000003AF8: 8E3F813F
	s_add_u32 s4, s4, s63                                      // 000000003AFC: 80043F04
	s_addc_u32 s5, s5, 0                                       // 000000003B00: 82058005
	s_sub_i32 s62, s43, s62                                    // 000000003B04: 81BE3E2B
	s_cmp_lt_u32 s62, 0x80                                     // 000000003B08: BF0AFF3E 00000080
	s_cselect_b32 s62, s62, 0x80                               // 000000003B10: 853EFF3E 00000080
	s_mul_i32 s62, s36, s62                                    // 000000003B18: 923E3E24
	s_sub_i32 s62, s62, s63                                    // 000000003B1C: 81BE3F3E
	s_mov_b32 s6, s62                                          // 000000003B20: BE86003E
	s_mov_b32 s7, 0x20000                                      // 000000003B24: BE8700FF 00020000
	s_cmp_gt_i32 s65, 0                                        // 000000003B2C: BF028041
	s_cbranch_scc0 label_03D8                                  // 000000003B30: BF84000B
	v_mul_i32_i24_e64 v4, v0, 4                                // 000000003B34: D1060004 00010900
	s_mul_i32 s62, s46, 0x100                                  // 000000003B3C: 923EFF2E 00000100
	v_add_u32_e32 v240, s62, v4                                // 000000003B44: 69E0083E
	v_add_u32_e32 v241, 0x80, v240                             // 000000003B48: 69E3E0FF 00000080
	s_mul_i32 s62, s36, 64                                     // 000000003B50: 923EC024
	v_add_u32_e32 v242, s62, v240                              // 000000003B54: 69E5E03E
	v_add_u32_e32 v243, s62, v241                              // 000000003B58: 69E7E23E
	s_branch label_03EE                                        // 000000003B5C: BF820016

0000000000003b60 <label_03D8>:
	v_and_b32_e64 v4, v0, 15                                   // 000000003B60: D1130004 00011F00
	v_mul_lo_u32 v240, s36, v4                                 // 000000003B68: D28500F0 00020824
	v_lshrrev_b32_e32 v4, 5, v0                                // 000000003B70: 20080085
	v_mul_i32_i24_e64 v4, v4, 16                               // 000000003B74: D1060004 00012104
	v_lshrrev_b32_e32 v5, 4, v0                                // 000000003B7C: 200A0084
	v_and_b32_e64 v5, v5, 1                                    // 000000003B80: D1130005 00010305
	v_mul_i32_i24_e64 v5, v5, 32                               // 000000003B88: D1060005 00014105
	v_add_u32_e32 v4, v4, v5                                   // 000000003B90: 68080B04
	v_add_u32_e32 v240, v4, v240                               // 000000003B94: 69E1E104
	s_mul_i32 s62, s46, 0x100                                  // 000000003B98: 923EFF2E 00000100
	v_add_u32_e32 v240, s62, v240                              // 000000003BA0: 69E1E03E
	v_add_u32_e32 v241, 0x80, v240                             // 000000003BA4: 69E3E0FF 00000080
	s_mul_i32 s62, s36, 64                                     // 000000003BAC: 923EC024
	v_add_u32_e32 v242, s62, v240                              // 000000003BB0: 69E5E03E
	v_add_u32_e32 v243, s62, v241                              // 000000003BB4: 69E7E23E

0000000000003bb8 <label_03EE>:
	s_cmp_lt_i32 s46, 2                                        // 000000003BB8: BF04822E
	s_cbranch_scc0 label_08F4                                  // 000000003BBC: BF840503

0000000000003bc0 <label_03F0>:
	s_waitcnt vmcnt(15) lgkmcnt(0)                             // 000000003BC0: BF8C007F
	v_mfma_scale_f32_16x16x128_f8f6f4 a[0:3], v[72:75], v[8:11], a[0:3], v204, v200 op_sel_hi:[0,0,0] cbsz:4 blgp:4// 000000003BC4: D3AC6000 000391CC D3AD8C00 84021148
	s_barrier                                                  // 000000003BD4: BF8A0000
	v_mfma_scale_f32_16x16x128_f8f6f4 a[4:7], v[72:75], v[12:15], a[4:7], v204, v200 op_sel_hi:[0,0,0] cbsz:4 blgp:4// 000000003BD8: D3AC7000 000391CC D3AD8C04 84121948
	buffer_load_dwordx4 v[136:139], v220, s[16:19], 0 offen    // 000000003BE8: E05C1000 800488DC
	v_mfma_scale_f32_16x16x128_f8f6f4 a[16:19], v[76:79], v[8:11], a[16:19], v204, v200 op_sel_hi:[0,0,0] cbsz:4 blgp:4// 000000003BF0: D3AC6800 000391CC D3AD8C10 8442114C
	ds_read_b128 v[40:43], v216 offset:8448                    // 000000003C00: D9FE2100 280000D8
	v_mfma_scale_f32_16x16x128_f8f6f4 a[20:23], v[76:79], v[12:15], a[20:23], v204, v200 op_sel_hi:[0,0,0] cbsz:4 blgp:4// 000000003C08: D3AC7800 000391CC D3AD8C14 8452194C
	v_mfma_scale_f32_16x16x128_f8f6f4 a[8:11], v[72:75], v[16:19], a[8:11], v204, v201 op_sel_hi:[0,0,0] cbsz:4 blgp:4// 000000003C18: D3AC6000 000393CC D3AD8C08 84222148
	ds_read_b128 v[56:59], v216 offset:8512                    // 000000003C28: D9FE2140 380000D8
	v_mfma_scale_f32_16x16x128_f8f6f4 a[12:15], v[72:75], v[20:23], a[12:15], v204, v201 op_sel_hi:[0,0,0] cbsz:4 blgp:4// 000000003C30: D3AC7000 000393CC D3AD8C0C 84322948
	buffer_load_dwordx4 v[140:143], v221, s[16:19], 0 offen    // 000000003C40: E05C1000 80048CDD
	v_mfma_scale_f32_16x16x128_f8f6f4 a[24:27], v[76:79], v[16:19], a[24:27], v204, v201 op_sel_hi:[0,0,0] cbsz:4 blgp:4// 000000003C48: D3AC6800 000393CC D3AD8C18 8462214C
	ds_read_b128 v[44:47], v216 offset:8960                    // 000000003C58: D9FE2300 2C0000D8
	v_mfma_scale_f32_16x16x128_f8f6f4 a[28:31], v[76:79], v[20:23], a[28:31], v204, v201 op_sel_hi:[0,0,0] cbsz:4 blgp:4// 000000003C60: D3AC7800 000393CC D3AD8C1C 8472294C
	v_mfma_scale_f32_16x16x128_f8f6f4 a[32:35], v[80:83], v[8:11], a[32:35], v205, v200 op_sel_hi:[0,0,0] cbsz:4 blgp:4// 000000003C70: D3AC6000 000391CD D3AD8C20 84821150
	ds_read_b128 v[60:63], v216 offset:9024                    // 000000003C80: D9FE2340 3C0000D8
	v_mfma_scale_f32_16x16x128_f8f6f4 a[36:39], v[80:83], v[12:15], a[36:39], v205, v200 op_sel_hi:[0,0,0] cbsz:4 blgp:4// 000000003C88: D3AC7000 000391CD D3AD8C24 84921950
	buffer_load_dwordx4 v[144:147], v222, s[16:19], 0 offen    // 000000003C98: E05C1000 800490DE
	v_mfma_scale_f32_16x16x128_f8f6f4 a[48:51], v[84:87], v[8:11], a[48:51], v205, v200 op_sel_hi:[0,0,0] cbsz:4 blgp:4// 000000003CA0: D3AC6800 000391CD D3AD8C30 84C21154
	ds_read_b128 v[48:51], v216 offset:12672                   // 000000003CB0: D9FE3180 300000D8
	v_mfma_scale_f32_16x16x128_f8f6f4 a[52:55], v[84:87], v[12:15], a[52:55], v205, v200 op_sel_hi:[0,0,0] cbsz:4 blgp:4// 000000003CB8: D3AC7800 000391CD D3AD8C34 84D21954
	v_mfma_scale_f32_16x16x128_f8f6f4 a[40:43], v[80:83], v[16:19], a[40:43], v205, v201 op_sel_hi:[0,0,0] cbsz:4 blgp:4// 000000003CC8: D3AC6000 000393CD D3AD8C28 84A22150
	ds_read_b128 v[64:67], v216 offset:12736                   // 000000003CD8: D9FE31C0 400000D8
	v_mfma_scale_f32_16x16x128_f8f6f4 a[44:47], v[80:83], v[20:23], a[44:47], v205, v201 op_sel_hi:[0,0,0] cbsz:4 blgp:4// 000000003CE0: D3AC7000 000393CD D3AD8C2C 84B22950
	buffer_load_dwordx4 v[148:151], v223, s[16:19], 0 offen    // 000000003CF0: E05C1000 800494DF
	v_mfma_scale_f32_16x16x128_f8f6f4 a[56:59], v[84:87], v[16:19], a[56:59], v205, v201 op_sel_hi:[0,0,0] cbsz:4 blgp:4// 000000003CF8: D3AC6800 000393CD D3AD8C38 84E22154
	ds_read_b128 v[52:55], v216 offset:13184                   // 000000003D08: D9FE3380 340000D8
	v_mfma_scale_f32_16x16x128_f8f6f4 a[60:63], v[84:87], v[20:23], a[60:63], v205, v201 op_sel_hi:[0,0,0] cbsz:4 blgp:4// 000000003D10: D3AC7800 000393CD D3AD8C3C 84F22954
	v_mfma_scale_f32_16x16x128_f8f6f4 a[0:3], v[88:91], v[24:27], a[0:3], v204, v200 op_sel_hi:[0,0,0] cbsz:4 blgp:4// 000000003D20: D3AC2000 180391CC D3AD8C00 84023158
	ds_read_b128 v[68:71], v216 offset:13248                   // 000000003D30: D9FE33C0 440000D8
	v_mfma_scale_f32_16x16x128_f8f6f4 a[4:7], v[88:91], v[28:31], a[4:7], v204, v200 op_sel_hi:[0,0,0] cbsz:4 blgp:4// 000000003D38: D3AC7000 180391CC D3AD8C04 84123958
	buffer_load_dwordx4 v[152:155], v224, s[16:19], 0 offen    // 000000003D48: E05C1000 800498E0
	v_mfma_scale_f32_16x16x128_f8f6f4 a[16:19], v[92:95], v[24:27], a[16:19], v204, v200 op_sel_hi:[0,0,0] cbsz:4 blgp:4// 000000003D50: D3AC6800 180391CC D3AD8C10 8442315C
	ds_read_b32 v202, v219 offset:512                          // 000000003D60: D86C0200 CA0000DB
	v_mfma_scale_f32_16x16x128_f8f6f4 a[20:23], v[92:95], v[28:31], a[20:23], v204, v200 op_sel_hi:[0,0,0] cbsz:4 blgp:4// 000000003D68: D3AC7800 180391CC D3AD8C14 8452395C
	v_mfma_scale_f32_16x16x128_f8f6f4 a[8:11], v[88:91], v[32:35], a[8:11], v204, v201 op_sel_hi:[0,0,0] cbsz:4 blgp:4// 000000003D78: D3AC6000 180393CC D3AD8C08 84224158
	ds_read_b32 v203, v219 offset:768                          // 000000003D88: D86C0300 CB0000DB
	v_mfma_scale_f32_16x16x128_f8f6f4 a[12:15], v[88:91], v[36:39], a[12:15], v204, v201 op_sel_hi:[0,0,0] cbsz:4 blgp:4// 000000003D90: D3AC7000 180393CC D3AD8C0C 84324958
	buffer_load_dwordx4 v[156:159], v225, s[16:19], 0 offen    // 000000003DA0: E05C1000 80049CE1
	v_mfma_scale_f32_16x16x128_f8f6f4 a[24:27], v[92:95], v[32:35], a[24:27], v204, v201 op_sel_hi:[0,0,0] cbsz:4 blgp:4// 000000003DA8: D3AC6800 180393CC D3AD8C18 8462415C
	v_mfma_scale_f32_16x16x128_f8f6f4 a[28:31], v[92:95], v[36:39], a[28:31], v204, v201 op_sel_hi:[0,0,0] cbsz:4 blgp:4// 000000003DB8: D3AC7800 180393CC D3AD8C1C 8472495C
	v_mfma_scale_f32_16x16x128_f8f6f4 a[32:35], v[96:99], v[24:27], a[32:35], v205, v200 op_sel_hi:[0,0,0] cbsz:4 blgp:4// 000000003DC8: D3AC6000 180391CD D3AD8C20 84823160
	v_mfma_scale_f32_16x16x128_f8f6f4 a[36:39], v[96:99], v[28:31], a[36:39], v205, v200 op_sel_hi:[0,0,0] cbsz:4 blgp:4// 000000003DD8: D3AC7000 180391CD D3AD8C24 84923960
	buffer_load_dwordx4 v[160:163], v226, s[16:19], 0 offen    // 000000003DE8: E05C1000 8004A0E2
	v_mfma_scale_f32_16x16x128_f8f6f4 a[48:51], v[100:103], v[24:27], a[48:51], v205, v200 op_sel_hi:[0,0,0] cbsz:4 blgp:4// 000000003DF0: D3AC6800 180391CD D3AD8C30 84C23164
	v_mfma_scale_f32_16x16x128_f8f6f4 a[52:55], v[100:103], v[28:31], a[52:55], v205, v200 op_sel_hi:[0,0,0] cbsz:4 blgp:4// 000000003E00: D3AC7800 180391CD D3AD8C34 84D23964
	v_mfma_scale_f32_16x16x128_f8f6f4 a[40:43], v[96:99], v[32:35], a[40:43], v205, v201 op_sel_hi:[0,0,0] cbsz:4 blgp:4// 000000003E10: D3AC6000 180393CD D3AD8C28 84A24160
	v_mfma_scale_f32_16x16x128_f8f6f4 a[44:47], v[96:99], v[36:39], a[44:47], v205, v201 op_sel_hi:[0,0,0] cbsz:4 blgp:4// 000000003E20: D3AC7000 180393CD D3AD8C2C 84B24960
	buffer_load_dwordx4 v[164:167], v227, s[16:19], 0 offen    // 000000003E30: E05C1000 8004A4E3
	v_mfma_scale_f32_16x16x128_f8f6f4 a[56:59], v[100:103], v[32:35], a[56:59], v205, v201 op_sel_hi:[0,0,0] cbsz:4 blgp:4// 000000003E38: D3AC6800 180393CD D3AD8C38 84E24164
	v_mfma_scale_f32_16x16x128_f8f6f4 a[60:63], v[100:103], v[36:39], a[60:63], v205, v201 op_sel_hi:[0,0,0] cbsz:4 blgp:4// 000000003E48: D3AC7800 180393CD D3AD8C3C 84F24964
	s_waitcnt vmcnt(13)                                        // 000000003E58: BF8C0F7D
	v_mfma_scale_f32_16x16x128_f8f6f4 a[64:67], v[104:107], v[8:11], a[64:67], v206, v200 op_sel_hi:[0,0,0] cbsz:4 blgp:4// 000000003E5C: D3AC6000 000391CE D3AD8C40 85021168
	s_add_u32 s62, 0x200, s60                                  // 000000003E6C: 803E3CFF 00000200
	v_mfma_scale_f32_16x16x128_f8f6f4 a[68:71], v[104:107], v[12:15], a[68:71], v206, v200 op_sel_hi:[0,0,0] cbsz:4 blgp:4// 000000003E74: D3AC7000 000391CE D3AD8C44 85121968
	buffer_load_dword v208, v236, s[24:27], 0 offen            // 000000003E84: E0501000 8006D0EC
	v_mfma_scale_f32_16x16x128_f8f6f4 a[80:83], v[108:111], v[8:11], a[80:83], v206, v200 op_sel_hi:[0,0,0] cbsz:4 blgp:4// 000000003E8C: D3AC6800 000391CE D3AD8C50 8542116C
	s_cmp_lt_u32 s62, s61                                      // 000000003E9C: BF0A3D3E
	v_mfma_scale_f32_16x16x128_f8f6f4 a[84:87], v[108:111], v[12:15], a[84:87], v206, v200 op_sel_hi:[0,0,0] cbsz:4 blgp:4// 000000003EA0: D3AC7800 000391CE D3AD8C54 8552196C
	v_mfma_scale_f32_16x16x128_f8f6f4 a[72:75], v[104:107], v[16:19], a[72:75], v206, v201 op_sel_hi:[0,0,0] cbsz:4 blgp:4// 000000003EB0: D3AC6000 000393CE D3AD8C48 85222168
	s_cselect_b32 s69, s69, 0                                  // 000000003EC0: 85458045
	v_mfma_scale_f32_16x16x128_f8f6f4 a[76:79], v[104:107], v[20:23], a[76:79], v206, v201 op_sel_hi:[0,0,0] cbsz:4 blgp:4// 000000003EC4: D3AC7000 000393CE D3AD8C4C 85322968
	buffer_load_dword v209, v237, s[24:27], 0 offen            // 000000003ED4: E0501000 8006D1ED
	v_mfma_scale_f32_16x16x128_f8f6f4 a[88:91], v[108:111], v[16:19], a[88:91], v206, v201 op_sel_hi:[0,0,0] cbsz:4 blgp:4// 000000003EDC: D3AC6800 000393CE D3AD8C58 8562216C
	s_cselect_b32 s71, s71, 0                                  // 000000003EEC: 85478047
	v_mfma_scale_f32_16x16x128_f8f6f4 a[92:95], v[108:111], v[20:23], a[92:95], v206, v201 op_sel_hi:[0,0,0] cbsz:4 blgp:4// 000000003EF0: D3AC7800 000393CE D3AD8C5C 8572296C
	v_mfma_scale_f32_16x16x128_f8f6f4 a[96:99], v[112:115], v[8:11], a[96:99], v207, v200 op_sel_hi:[0,0,0] cbsz:4 blgp:4// 000000003F00: D3AC6000 000391CF D3AD8C60 85821170
	s_add_u32 s12, s12, s69                                    // 000000003F10: 800C450C
	v_mfma_scale_f32_16x16x128_f8f6f4 a[100:103], v[112:115], v[12:15], a[100:103], v207, v200 op_sel_hi:[0,0,0] cbsz:4 blgp:4// 000000003F14: D3AC7000 000391CF D3AD8C64 85921970
	buffer_load_dwordx4 v[168:171], v228, s[16:19], 0 offen    // 000000003F24: E05C1000 8004A8E4
	v_mfma_scale_f32_16x16x128_f8f6f4 a[112:115], v[116:119], v[8:11], a[112:115], v207, v200 op_sel_hi:[0,0,0] cbsz:4 blgp:4// 000000003F2C: D3AC6800 000391CF D3AD8C70 85C21174
	s_addc_u32 s13, 0, s13                                     // 000000003F3C: 820D0D80
	v_mfma_scale_f32_16x16x128_f8f6f4 a[116:119], v[116:119], v[12:15], a[116:119], v207, v200 op_sel_hi:[0,0,0] cbsz:4 blgp:4// 000000003F40: D3AC7800 000391CF D3AD8C74 85D21974
	v_mfma_scale_f32_16x16x128_f8f6f4 a[104:107], v[112:115], v[16:19], a[104:107], v207, v201 op_sel_hi:[0,0,0] cbsz:4 blgp:4// 000000003F50: D3AC6000 000393CF D3AD8C68 85A22170
	s_sub_u32 s14, s14, s69                                    // 000000003F60: 808E450E
	v_mfma_scale_f32_16x16x128_f8f6f4 a[108:111], v[112:115], v[20:23], a[108:111], v207, v201 op_sel_hi:[0,0,0] cbsz:4 blgp:4// 000000003F64: D3AC7000 000393CF D3AD8C6C 85B22970
	buffer_load_dwordx4 v[172:175], v229, s[16:19], 0 offen    // 000000003F74: E05C1000 8004ACE5
	v_mfma_scale_f32_16x16x128_f8f6f4 a[120:123], v[116:119], v[16:19], a[120:123], v207, v201 op_sel_hi:[0,0,0] cbsz:4 blgp:4// 000000003F7C: D3AC6800 000393CF D3AD8C78 85E22174
	s_add_u32 s20, s20, s71                                    // 000000003F8C: 80144714
	v_mfma_scale_f32_16x16x128_f8f6f4 a[124:127], v[116:119], v[20:23], a[124:127], v207, v201 op_sel_hi:[0,0,0] cbsz:4 blgp:4// 000000003F90: D3AC7800 000393CF D3AD8C7C 85F22974
	v_mfma_scale_f32_16x16x128_f8f6f4 a[64:67], v[120:123], v[24:27], a[64:67], v206, v200 op_sel_hi:[0,0,0] cbsz:4 blgp:4// 000000003FA0: D3AC6000 180391CE D3AD8C40 85023178
	s_addc_u32 s21, 0, s21                                     // 000000003FB0: 82151580
	v_mfma_scale_f32_16x16x128_f8f6f4 a[68:71], v[120:123], v[28:31], a[68:71], v206, v200 op_sel_hi:[0,0,0] cbsz:4 blgp:4// 000000003FB4: D3AC7000 180391CE D3AD8C44 85123978
	buffer_load_dwordx4 v[176:179], v230, s[16:19], 0 offen    // 000000003FC4: E05C1000 8004B0E6
	v_mfma_scale_f32_16x16x128_f8f6f4 a[80:83], v[124:127], v[24:27], a[80:83], v206, v200 op_sel_hi:[0,0,0] cbsz:4 blgp:4// 000000003FCC: D3AC6800 180391CE D3AD8C50 8542317C
	s_sub_u32 s22, s22, s71                                    // 000000003FDC: 80964716
	v_mfma_scale_f32_16x16x128_f8f6f4 a[84:87], v[124:127], v[28:31], a[84:87], v206, v200 op_sel_hi:[0,0,0] cbsz:4 blgp:4// 000000003FE0: D3AC7800 180391CE D3AD8C54 8552397C
	v_mfma_scale_f32_16x16x128_f8f6f4 a[72:75], v[120:123], v[32:35], a[72:75], v206, v201 op_sel_hi:[0,0,0] cbsz:4 blgp:4// 000000003FF0: D3AC6000 180393CE D3AD8C48 85224178
	v_mfma_scale_f32_16x16x128_f8f6f4 a[76:79], v[120:123], v[36:39], a[76:79], v206, v201 op_sel_hi:[0,0,0] cbsz:4 blgp:4// 000000004000: D3AC7000 180393CE D3AD8C4C 85324978
	buffer_load_dwordx4 v[180:183], v231, s[16:19], 0 offen    // 000000004010: E05C1000 8004B4E7
	v_mfma_scale_f32_16x16x128_f8f6f4 a[88:91], v[124:127], v[32:35], a[88:91], v206, v201 op_sel_hi:[0,0,0] cbsz:4 blgp:4// 000000004018: D3AC6800 180393CE D3AD8C58 8562417C
	v_mfma_scale_f32_16x16x128_f8f6f4 a[92:95], v[124:127], v[36:39], a[92:95], v206, v201 op_sel_hi:[0,0,0] cbsz:4 blgp:4// 000000004028: D3AC7800 180393CE D3AD8C5C 8572497C
	v_mfma_scale_f32_16x16x128_f8f6f4 a[96:99], v[128:131], v[24:27], a[96:99], v207, v200 op_sel_hi:[0,0,0] cbsz:4 blgp:4// 000000004038: D3AC6000 180391CF D3AD8C60 85823180
	v_mfma_scale_f32_16x16x128_f8f6f4 a[100:103], v[128:131], v[28:31], a[100:103], v207, v200 op_sel_hi:[0,0,0] cbsz:4 blgp:4// 000000004048: D3AC7000 180391CF D3AD8C64 85923980
	buffer_load_dwordx4 v[184:187], v232, s[16:19], 0 offen    // 000000004058: E05C1000 8004B8E8
	v_mfma_scale_f32_16x16x128_f8f6f4 a[112:115], v[132:135], v[24:27], a[112:115], v207, v200 op_sel_hi:[0,0,0] cbsz:4 blgp:4// 000000004060: D3AC6800 180391CF D3AD8C70 85C23184
	v_mfma_scale_f32_16x16x128_f8f6f4 a[116:119], v[132:135], v[28:31], a[116:119], v207, v200 op_sel_hi:[0,0,0] cbsz:4 blgp:4// 000000004070: D3AC7800 180391CF D3AD8C74 85D23984
	v_mfma_scale_f32_16x16x128_f8f6f4 a[104:107], v[128:131], v[32:35], a[104:107], v207, v201 op_sel_hi:[0,0,0] cbsz:4 blgp:4// 000000004080: D3AC6000 180393CF D3AD8C68 85A24180
	v_mfma_scale_f32_16x16x128_f8f6f4 a[108:111], v[128:131], v[36:39], a[108:111], v207, v201 op_sel_hi:[0,0,0] cbsz:4 blgp:4// 000000004090: D3AC7000 180393CF D3AD8C6C 85B24980
	buffer_load_dwordx4 v[188:191], v233, s[16:19], 0 offen    // 0000000040A0: E05C1000 8004BCE9
	v_mfma_scale_f32_16x16x128_f8f6f4 a[120:123], v[132:135], v[32:35], a[120:123], v207, v201 op_sel_hi:[0,0,0] cbsz:4 blgp:4// 0000000040A8: D3AC6800 180393CF D3AD8C78 85E24184
	v_mfma_scale_f32_16x16x128_f8f6f4 a[124:127], v[132:135], v[36:39], a[124:127], v207, v201 op_sel_hi:[0,0,0] cbsz:4 blgp:4// 0000000040B8: D3AC7800 180393CF D3AD8C7C 85F24984
	s_waitcnt vmcnt(18) lgkmcnt(0)                             // 0000000040C8: BF8C4072
	v_mfma_scale_f32_16x16x128_f8f6f4 a[128:131], v[72:75], v[40:43], a[128:131], v204, v202 op_sel_hi:[0,0,0] cbsz:4 blgp:4// 0000000040CC: D3AC6000 000395CC D3AD8C80 86025148
	s_barrier                                                  // 0000000040DC: BF8A0000
	v_mfma_scale_f32_16x16x128_f8f6f4 a[132:135], v[72:75], v[44:47], a[132:135], v204, v202 op_sel_hi:[0,0,0] cbsz:4 blgp:4// 0000000040E0: D3AC7000 000395CC D3AD8C84 86125948
	buffer_load_dwordx4 v[192:195], v234, s[16:19], 0 offen    // 0000000040F0: E05C1000 8004C0EA
	v_mfma_scale_f32_16x16x128_f8f6f4 a[144:147], v[76:79], v[40:43], a[144:147], v204, v202 op_sel_hi:[0,0,0] cbsz:4 blgp:4// 0000000040F8: D3AC6800 000395CC D3AD8C90 8642514C
	ds_read_b128 v[8:11], v217                                 // 000000004108: D9FE0000 080000D9
	v_mfma_scale_f32_16x16x128_f8f6f4 a[148:151], v[76:79], v[44:47], a[148:151], v204, v202 op_sel_hi:[0,0,0] cbsz:4 blgp:4// 000000004110: D3AC7800 000395CC D3AD8C94 8652594C
	v_mfma_scale_f32_16x16x128_f8f6f4 a[136:139], v[72:75], v[48:51], a[136:139], v204, v203 op_sel_hi:[0,0,0] cbsz:4 blgp:4// 000000004120: D3AC6000 000397CC D3AD8C88 86226148
	ds_read_b128 v[24:27], v217 offset:64                      // 000000004130: D9FE0040 180000D9
	v_mfma_scale_f32_16x16x128_f8f6f4 a[140:143], v[72:75], v[52:55], a[140:143], v204, v203 op_sel_hi:[0,0,0] cbsz:4 blgp:4// 000000004138: D3AC7000 000397CC D3AD8C8C 86326948
	buffer_load_dwordx4 v[196:199], v235, s[16:19], 0 offen    // 000000004148: E05C1000 8004C4EB
	v_mfma_scale_f32_16x16x128_f8f6f4 a[152:155], v[76:79], v[48:51], a[152:155], v204, v203 op_sel_hi:[0,0,0] cbsz:4 blgp:4// 000000004150: D3AC6800 000397CC D3AD8C98 8662614C
	ds_read_b128 v[12:15], v217 offset:512                     // 000000004160: D9FE0200 0C0000D9
	v_mfma_scale_f32_16x16x128_f8f6f4 a[156:159], v[76:79], v[52:55], a[156:159], v204, v203 op_sel_hi:[0,0,0] cbsz:4 blgp:4// 000000004168: D3AC7800 000397CC D3AD8C9C 8672694C
	v_mfma_scale_f32_16x16x128_f8f6f4 a[160:163], v[80:83], v[40:43], a[160:163], v205, v202 op_sel_hi:[0,0,0] cbsz:4 blgp:4// 000000004178: D3AC6000 000395CD D3AD8CA0 86825150
	ds_read_b128 v[28:31], v217 offset:576                     // 000000004188: D9FE0240 1C0000D9
	v_mfma_scale_f32_16x16x128_f8f6f4 a[164:167], v[80:83], v[44:47], a[164:167], v205, v202 op_sel_hi:[0,0,0] cbsz:4 blgp:4// 000000004190: D3AC7000 000395CD D3AD8CA4 86925950
	buffer_load_dword v210, v238, s[24:27], 0 offen            // 0000000041A0: E0501000 8006D2EE
	v_mfma_scale_f32_16x16x128_f8f6f4 a[176:179], v[84:87], v[40:43], a[176:179], v205, v202 op_sel_hi:[0,0,0] cbsz:4 blgp:4// 0000000041A8: D3AC6800 000395CD D3AD8CB0 86C25154
	ds_read_b128 v[16:19], v217 offset:4224                    // 0000000041B8: D9FE1080 100000D9
	v_mfma_scale_f32_16x16x128_f8f6f4 a[180:183], v[84:87], v[44:47], a[180:183], v205, v202 op_sel_hi:[0,0,0] cbsz:4 blgp:4// 0000000041C0: D3AC7800 000395CD D3AD8CB4 86D25954
	v_mfma_scale_f32_16x16x128_f8f6f4 a[168:171], v[80:83], v[48:51], a[168:171], v205, v203 op_sel_hi:[0,0,0] cbsz:4 blgp:4// 0000000041D0: D3AC6000 000397CD D3AD8CA8 86A26150
	ds_read_b128 v[32:35], v217 offset:4288                    // 0000000041E0: D9FE10C0 200000D9
	v_mfma_scale_f32_16x16x128_f8f6f4 a[172:175], v[80:83], v[52:55], a[172:175], v205, v203 op_sel_hi:[0,0,0] cbsz:4 blgp:4// 0000000041E8: D3AC7000 000397CD D3AD8CAC 86B26950
	buffer_load_dword v211, v239, s[24:27], 0 offen            // 0000000041F8: E0501000 8006D3EF
	v_mfma_scale_f32_16x16x128_f8f6f4 a[184:187], v[84:87], v[48:51], a[184:187], v205, v203 op_sel_hi:[0,0,0] cbsz:4 blgp:4// 000000004200: D3AC6800 000397CD D3AD8CB8 86E26154
	ds_read_b128 v[20:23], v217 offset:4736                    // 000000004210: D9FE1280 140000D9
	v_mfma_scale_f32_16x16x128_f8f6f4 a[188:191], v[84:87], v[52:55], a[188:191], v205, v203 op_sel_hi:[0,0,0] cbsz:4 blgp:4// 000000004218: D3AC7800 000397CD D3AD8CBC 86F26954
	s_add_u32 m0, 0, s67                                       // 000000004228: 807C4380
	v_mfma_scale_f32_16x16x128_f8f6f4 a[128:131], v[88:91], v[56:59], a[128:131], v204, v202 op_sel_hi:[0,0,0] cbsz:4 blgp:4// 00000000422C: D3AC4000 180395CC D3AD8C80 86027158
	ds_read_b128 v[36:39], v217 offset:4800                    // 00000000423C: D9FE12C0 240000D9
	v_mfma_scale_f32_16x16x128_f8f6f4 a[132:135], v[88:91], v[60:63], a[132:135], v204, v202 op_sel_hi:[0,0,0] cbsz:4 blgp:4// 000000004244: D3AC7000 180395CC D3AD8C84 86127958
	buffer_load_dwordx4 v212, s[12:15], 0 offen lds            // 000000004254: E05D1000 800300D4
	v_mfma_scale_f32_16x16x128_f8f6f4 a[144:147], v[92:95], v[56:59], a[144:147], v204, v202 op_sel_hi:[0,0,0] cbsz:4 blgp:4// 00000000425C: D3AC4800 180395CC D3AD8C90 8642715C
	ds_read_b32 v200, v219 offset:1024                         // 00000000426C: D86C0400 C80000DB
	v_mfma_scale_f32_16x16x128_f8f6f4 a[148:151], v[92:95], v[60:63], a[148:151], v204, v202 op_sel_hi:[0,0,0] cbsz:4 blgp:4// 000000004274: D3AC7800 180395CC D3AD8C94 8652795C
	s_add_u32 m0, 0x1080, s67                                  // 000000004284: 807C43FF 00001080
	v_mfma_scale_f32_16x16x128_f8f6f4 a[136:139], v[88:91], v[64:67], a[136:139], v204, v203 op_sel_hi:[0,0,0] cbsz:4 blgp:4// 00000000428C: D3AC6000 180397CC D3AD8C88 86228158
	ds_read_b32 v201, v219 offset:1280                         // 00000000429C: D86C0500 C90000DB
	v_mfma_scale_f32_16x16x128_f8f6f4 a[140:143], v[88:91], v[68:71], a[140:143], v204, v203 op_sel_hi:[0,0,0] cbsz:4 blgp:4// 0000000042A4: D3AC7000 180397CC D3AD8C8C 86328958
	buffer_load_dwordx4 v213, s[12:15], 0 offen lds            // 0000000042B4: E05D1000 800300D5
	v_mfma_scale_f32_16x16x128_f8f6f4 a[152:155], v[92:95], v[64:67], a[152:155], v204, v203 op_sel_hi:[0,0,0] cbsz:4 blgp:4// 0000000042BC: D3AC6800 180397CC D3AD8C98 8662815C
	v_mfma_scale_f32_16x16x128_f8f6f4 a[156:159], v[92:95], v[68:71], a[156:159], v204, v203 op_sel_hi:[0,0,0] cbsz:4 blgp:4// 0000000042CC: D3AC7800 180397CC D3AD8C9C 8672895C
	s_add_u32 m0, 0, s68                                       // 0000000042DC: 807C4480
	v_mfma_scale_f32_16x16x128_f8f6f4 a[160:163], v[96:99], v[56:59], a[160:163], v205, v202 op_sel_hi:[0,0,0] cbsz:4 blgp:4// 0000000042E0: D3AC2000 180395CD D3AD8CA0 86827160
	v_mfma_scale_f32_16x16x128_f8f6f4 a[164:167], v[96:99], v[60:63], a[164:167], v205, v202 op_sel_hi:[0,0,0] cbsz:4 blgp:4// 0000000042F0: D3AC7000 180395CD D3AD8CA4 86927960
	buffer_load_dword v218, s[20:23], 0 offen lds              // 000000004300: E0511000 800500DA
	v_mfma_scale_f32_16x16x128_f8f6f4 a[176:179], v[100:103], v[56:59], a[176:179], v205, v202 op_sel_hi:[0,0,0] cbsz:4 blgp:4// 000000004308: D3AC6800 180395CD D3AD8CB0 86C27164
	v_mfma_scale_f32_16x16x128_f8f6f4 a[180:183], v[100:103], v[60:63], a[180:183], v205, v202 op_sel_hi:[0,0,0] cbsz:4 blgp:4// 000000004318: D3AC7800 180395CD D3AD8CB4 86D27964
	v_mfma_scale_f32_16x16x128_f8f6f4 a[168:171], v[96:99], v[64:67], a[168:171], v205, v203 op_sel_hi:[0,0,0] cbsz:4 blgp:4// 000000004328: D3AC6000 180397CD D3AD8CA8 86A28160
	v_mfma_scale_f32_16x16x128_f8f6f4 a[172:175], v[96:99], v[68:71], a[172:175], v205, v203 op_sel_hi:[0,0,0] cbsz:4 blgp:4// 000000004338: D3AC7000 180397CD D3AD8CAC 86B28960
	v_mfma_scale_f32_16x16x128_f8f6f4 a[184:187], v[100:103], v[64:67], a[184:187], v205, v203 op_sel_hi:[0,0,0] cbsz:4 blgp:4// 000000004348: D3AC6800 180397CD D3AD8CB8 86E28164
	v_mfma_scale_f32_16x16x128_f8f6f4 a[188:191], v[100:103], v[68:71], a[188:191], v205, v203 op_sel_hi:[0,0,0] cbsz:4 blgp:4// 000000004358: D3AC7800 180397CD D3AD8CBC 86F28964
	v_mfma_scale_f32_16x16x128_f8f6f4 a[192:195], v[104:107], v[40:43], a[192:195], v206, v202 op_sel_hi:[0,0,0] cbsz:4 blgp:4// 000000004368: D3AC6000 000395CE D3AD8CC0 87025168
	v_mfma_scale_f32_16x16x128_f8f6f4 a[196:199], v[104:107], v[44:47], a[196:199], v206, v202 op_sel_hi:[0,0,0] cbsz:4 blgp:4// 000000004378: D3AC7000 000395CE D3AD8CC4 87125968
	s_add_u32 m0, 0x2100, s67                                  // 000000004388: 807C43FF 00002100
	v_mfma_scale_f32_16x16x128_f8f6f4 a[208:211], v[108:111], v[40:43], a[208:211], v206, v202 op_sel_hi:[0,0,0] cbsz:4 blgp:4// 000000004390: D3AC6800 000395CE D3AD8CD0 8742516C
	buffer_load_dwordx4 v214, s[12:15], 0 offen lds            // 0000000043A0: E05D1000 800300D6
	v_mfma_scale_f32_16x16x128_f8f6f4 a[212:215], v[108:111], v[44:47], a[212:215], v206, v202 op_sel_hi:[0,0,0] cbsz:4 blgp:4// 0000000043A8: D3AC7800 000395CE D3AD8CD4 8752596C
	v_mfma_scale_f32_16x16x128_f8f6f4 a[200:203], v[104:107], v[48:51], a[200:203], v206, v203 op_sel_hi:[0,0,0] cbsz:4 blgp:4// 0000000043B8: D3AC6000 000397CE D3AD8CC8 87226168
	v_mfma_scale_f32_16x16x128_f8f6f4 a[204:207], v[104:107], v[52:55], a[204:207], v206, v203 op_sel_hi:[0,0,0] cbsz:4 blgp:4// 0000000043C8: D3AC7000 000397CE D3AD8CCC 87326968
	s_add_u32 m0, 0x3180, s67                                  // 0000000043D8: 807C43FF 00003180
	v_mfma_scale_f32_16x16x128_f8f6f4 a[216:219], v[108:111], v[48:51], a[216:219], v206, v203 op_sel_hi:[0,0,0] cbsz:4 blgp:4// 0000000043E0: D3AC6800 000397CE D3AD8CD8 8762616C
	buffer_load_dwordx4 v215, s[12:15], 0 offen lds            // 0000000043F0: E05D1000 800300D7
	v_mfma_scale_f32_16x16x128_f8f6f4 a[220:223], v[108:111], v[52:55], a[220:223], v206, v203 op_sel_hi:[0,0,0] cbsz:4 blgp:4// 0000000043F8: D3AC7800 000397CE D3AD8CDC 8772696C
	v_mfma_scale_f32_16x16x128_f8f6f4 a[224:227], v[112:115], v[40:43], a[224:227], v207, v202 op_sel_hi:[0,0,0] cbsz:4 blgp:4// 000000004408: D3AC6000 000395CF D3AD8CE0 87825170
	s_add_u32 s63, 0x200, s60                                  // 000000004418: 803F3CFF 00000200
	v_mfma_scale_f32_16x16x128_f8f6f4 a[228:231], v[112:115], v[44:47], a[228:231], v207, v202 op_sel_hi:[0,0,0] cbsz:4 blgp:4// 000000004420: D3AC7000 000395CF D3AD8CE4 87925970
	v_mfma_scale_f32_16x16x128_f8f6f4 a[240:243], v[116:119], v[40:43], a[240:243], v207, v202 op_sel_hi:[0,0,0] cbsz:4 blgp:4// 000000004430: D3AC6800 000395CF D3AD8CF0 87C25174
	s_cmp_lt_u32 s63, s61                                      // 000000004440: BF0A3D3F
	v_mfma_scale_f32_16x16x128_f8f6f4 a[244:247], v[116:119], v[44:47], a[244:247], v207, v202 op_sel_hi:[0,0,0] cbsz:4 blgp:4// 000000004444: D3AC7800 000395CF D3AD8CF4 87D25974
	v_mfma_scale_f32_16x16x128_f8f6f4 a[232:235], v[112:115], v[48:51], a[232:235], v207, v203 op_sel_hi:[0,0,0] cbsz:4 blgp:4// 000000004454: D3AC6000 000397CF D3AD8CE8 87A26170
	s_cselect_b32 s70, s70, 0                                  // 000000004464: 85468046
	v_mfma_scale_f32_16x16x128_f8f6f4 a[236:239], v[112:115], v[52:55], a[236:239], v207, v203 op_sel_hi:[0,0,0] cbsz:4 blgp:4// 000000004468: D3AC7000 000397CF D3AD8CEC 87B26970
	v_mfma_scale_f32_16x16x128_f8f6f4 a[248:251], v[116:119], v[48:51], a[248:251], v207, v203 op_sel_hi:[0,0,0] cbsz:4 blgp:4// 000000004478: D3AC6800 000397CF D3AD8CF8 87E26174
	s_cselect_b32 s72, s72, 0                                  // 000000004488: 85488048
	v_mfma_scale_f32_16x16x128_f8f6f4 a[252:255], v[116:119], v[52:55], a[252:255], v207, v203 op_sel_hi:[0,0,0] cbsz:4 blgp:4// 00000000448C: D3AC7800 000397CF D3AD8CFC 87F26974
	v_mfma_scale_f32_16x16x128_f8f6f4 a[192:195], v[120:123], v[56:59], a[192:195], v206, v202 op_sel_hi:[0,0,0] cbsz:4 blgp:4// 00000000449C: D3AC6000 180395CE D3AD8CC0 87027178
	s_add_u32 s16, s16, s70                                    // 0000000044AC: 80104610
	v_mfma_scale_f32_16x16x128_f8f6f4 a[196:199], v[120:123], v[60:63], a[196:199], v206, v202 op_sel_hi:[0,0,0] cbsz:4 blgp:4// 0000000044B0: D3AC7000 180395CE D3AD8CC4 87127978
	v_mfma_scale_f32_16x16x128_f8f6f4 a[208:211], v[124:127], v[56:59], a[208:211], v206, v202 op_sel_hi:[0,0,0] cbsz:4 blgp:4// 0000000044C0: D3AC6800 180395CE D3AD8CD0 8742717C
	s_addc_u32 s17, 0, s17                                     // 0000000044D0: 82111180
	v_mfma_scale_f32_16x16x128_f8f6f4 a[212:215], v[124:127], v[60:63], a[212:215], v206, v202 op_sel_hi:[0,0,0] cbsz:4 blgp:4// 0000000044D4: D3AC7800 180395CE D3AD8CD4 8752797C
	v_mfma_scale_f32_16x16x128_f8f6f4 a[200:203], v[120:123], v[64:67], a[200:203], v206, v203 op_sel_hi:[0,0,0] cbsz:4 blgp:4// 0000000044E4: D3AC6000 180397CE D3AD8CC8 87228178
	s_sub_u32 s18, s18, s70                                    // 0000000044F4: 80924612
	v_mfma_scale_f32_16x16x128_f8f6f4 a[204:207], v[120:123], v[68:71], a[204:207], v206, v203 op_sel_hi:[0,0,0] cbsz:4 blgp:4// 0000000044F8: D3AC7000 180397CE D3AD8CCC 87328978
	v_mfma_scale_f32_16x16x128_f8f6f4 a[216:219], v[124:127], v[64:67], a[216:219], v206, v203 op_sel_hi:[0,0,0] cbsz:4 blgp:4// 000000004508: D3AC6800 180397CE D3AD8CD8 8762817C
	s_add_u32 s24, s24, s72                                    // 000000004518: 80184818
	v_mfma_scale_f32_16x16x128_f8f6f4 a[220:223], v[124:127], v[68:71], a[220:223], v206, v203 op_sel_hi:[0,0,0] cbsz:4 blgp:4// 00000000451C: D3AC7800 180397CE D3AD8CDC 8772897C
	v_mfma_scale_f32_16x16x128_f8f6f4 a[224:227], v[128:131], v[56:59], a[224:227], v207, v202 op_sel_hi:[0,0,0] cbsz:4 blgp:4// 00000000452C: D3AC6000 180395CF D3AD8CE0 87827180
	s_addc_u32 s25, 0, s25                                     // 00000000453C: 82191980
	v_mfma_scale_f32_16x16x128_f8f6f4 a[228:231], v[128:131], v[60:63], a[228:231], v207, v202 op_sel_hi:[0,0,0] cbsz:4 blgp:4// 000000004540: D3AC7000 180395CF D3AD8CE4 87927980
	v_mfma_scale_f32_16x16x128_f8f6f4 a[240:243], v[132:135], v[56:59], a[240:243], v207, v202 op_sel_hi:[0,0,0] cbsz:4 blgp:4// 000000004550: D3AC6800 180395CF D3AD8CF0 87C27184
	s_sub_u32 s26, s26, s72                                    // 000000004560: 809A481A
	v_mfma_scale_f32_16x16x128_f8f6f4 a[244:247], v[132:135], v[60:63], a[244:247], v207, v202 op_sel_hi:[0,0,0] cbsz:4 blgp:4// 000000004564: D3AC7800 180395CF D3AD8CF4 87D27984
	v_mfma_scale_f32_16x16x128_f8f6f4 a[232:235], v[128:131], v[64:67], a[232:235], v207, v203 op_sel_hi:[0,0,0] cbsz:4 blgp:4// 000000004574: D3AC6000 180397CF D3AD8CE8 87A28180
	s_addk_i32 s60, 0x100                                      // 000000004584: B73C0100
	v_mfma_scale_f32_16x16x128_f8f6f4 a[236:239], v[128:131], v[68:71], a[236:239], v207, v203 op_sel_hi:[0,0,0] cbsz:4 blgp:4// 000000004588: D3AC7000 180397CF D3AD8CEC 87B28980
	v_mfma_scale_f32_16x16x128_f8f6f4 a[248:251], v[132:135], v[64:67], a[248:251], v207, v203 op_sel_hi:[0,0,0] cbsz:4 blgp:4// 000000004598: D3AC6800 180397CF D3AD8CF8 87E28184
	s_cmp_lt_i32 s60, s61                                      // 0000000045A8: BF043D3C
	v_mfma_scale_f32_16x16x128_f8f6f4 a[252:255], v[132:135], v[68:71], a[252:255], v207, v203 op_sel_hi:[0,0,0] cbsz:4 blgp:4// 0000000045AC: D3AC7800 180397CF D3AD8CFC 87F28984
	s_cbranch_scc0 label_0DF7                                  // 0000000045BC: BF840786
	s_waitcnt vmcnt(15) lgkmcnt(0)                             // 0000000045C0: BF8C007F
	v_mfma_scale_f32_16x16x128_f8f6f4 a[0:3], v[136:139], v[8:11], a[0:3], v208, v200 op_sel_hi:[0,0,0] cbsz:4 blgp:4// 0000000045C4: D3AC6000 000391D0 D3AD8C00 84021188
	s_barrier                                                  // 0000000045D4: BF8A0000
	v_mfma_scale_f32_16x16x128_f8f6f4 a[4:7], v[136:139], v[12:15], a[4:7], v208, v200 op_sel_hi:[0,0,0] cbsz:4 blgp:4// 0000000045D8: D3AC7000 000391D0 D3AD8C04 84121988
	buffer_load_dwordx4 v[72:75], v220, s[16:19], 0 offen      // 0000000045E8: E05C1000 800448DC
	v_mfma_scale_f32_16x16x128_f8f6f4 a[16:19], v[140:143], v[8:11], a[16:19], v208, v200 op_sel_hi:[0,0,0] cbsz:4 blgp:4// 0000000045F0: D3AC6800 000391D0 D3AD8C10 8442118C
	ds_read_b128 v[40:43], v217 offset:8448                    // 000000004600: D9FE2100 280000D9
	v_mfma_scale_f32_16x16x128_f8f6f4 a[20:23], v[140:143], v[12:15], a[20:23], v208, v200 op_sel_hi:[0,0,0] cbsz:4 blgp:4// 000000004608: D3AC7800 000391D0 D3AD8C14 8452198C
	v_mfma_scale_f32_16x16x128_f8f6f4 a[8:11], v[136:139], v[16:19], a[8:11], v208, v201 op_sel_hi:[0,0,0] cbsz:4 blgp:4// 000000004618: D3AC6000 000393D0 D3AD8C08 84222188
	ds_read_b128 v[56:59], v217 offset:8512                    // 000000004628: D9FE2140 380000D9
	v_mfma_scale_f32_16x16x128_f8f6f4 a[12:15], v[136:139], v[20:23], a[12:15], v208, v201 op_sel_hi:[0,0,0] cbsz:4 blgp:4// 000000004630: D3AC7000 000393D0 D3AD8C0C 84322988
	buffer_load_dwordx4 v[76:79], v221, s[16:19], 0 offen      // 000000004640: E05C1000 80044CDD
	v_mfma_scale_f32_16x16x128_f8f6f4 a[24:27], v[140:143], v[16:19], a[24:27], v208, v201 op_sel_hi:[0,0,0] cbsz:4 blgp:4// 000000004648: D3AC6800 000393D0 D3AD8C18 8462218C
	ds_read_b128 v[44:47], v217 offset:8960                    // 000000004658: D9FE2300 2C0000D9
	v_mfma_scale_f32_16x16x128_f8f6f4 a[28:31], v[140:143], v[20:23], a[28:31], v208, v201 op_sel_hi:[0,0,0] cbsz:4 blgp:4// 000000004660: D3AC7800 000393D0 D3AD8C1C 8472298C
	v_mfma_scale_f32_16x16x128_f8f6f4 a[32:35], v[144:147], v[8:11], a[32:35], v209, v200 op_sel_hi:[0,0,0] cbsz:4 blgp:4// 000000004670: D3AC6000 000391D1 D3AD8C20 84821190
	ds_read_b128 v[60:63], v217 offset:9024                    // 000000004680: D9FE2340 3C0000D9
	v_mfma_scale_f32_16x16x128_f8f6f4 a[36:39], v[144:147], v[12:15], a[36:39], v209, v200 op_sel_hi:[0,0,0] cbsz:4 blgp:4// 000000004688: D3AC7000 000391D1 D3AD8C24 84921990
	buffer_load_dwordx4 v[80:83], v222, s[16:19], 0 offen      // 000000004698: E05C1000 800450DE
	v_mfma_scale_f32_16x16x128_f8f6f4 a[48:51], v[148:151], v[8:11], a[48:51], v209, v200 op_sel_hi:[0,0,0] cbsz:4 blgp:4// 0000000046A0: D3AC6800 000391D1 D3AD8C30 84C21194
	ds_read_b128 v[48:51], v217 offset:12672                   // 0000000046B0: D9FE3180 300000D9
	v_mfma_scale_f32_16x16x128_f8f6f4 a[52:55], v[148:151], v[12:15], a[52:55], v209, v200 op_sel_hi:[0,0,0] cbsz:4 blgp:4// 0000000046B8: D3AC7800 000391D1 D3AD8C34 84D21994
	v_mfma_scale_f32_16x16x128_f8f6f4 a[40:43], v[144:147], v[16:19], a[40:43], v209, v201 op_sel_hi:[0,0,0] cbsz:4 blgp:4// 0000000046C8: D3AC6000 000393D1 D3AD8C28 84A22190
	ds_read_b128 v[64:67], v217 offset:12736                   // 0000000046D8: D9FE31C0 400000D9
	v_mfma_scale_f32_16x16x128_f8f6f4 a[44:47], v[144:147], v[20:23], a[44:47], v209, v201 op_sel_hi:[0,0,0] cbsz:4 blgp:4// 0000000046E0: D3AC7000 000393D1 D3AD8C2C 84B22990
	buffer_load_dwordx4 v[84:87], v223, s[16:19], 0 offen      // 0000000046F0: E05C1000 800454DF
	v_mfma_scale_f32_16x16x128_f8f6f4 a[56:59], v[148:151], v[16:19], a[56:59], v209, v201 op_sel_hi:[0,0,0] cbsz:4 blgp:4// 0000000046F8: D3AC6800 000393D1 D3AD8C38 84E22194
	ds_read_b128 v[52:55], v217 offset:13184                   // 000000004708: D9FE3380 340000D9
	v_mfma_scale_f32_16x16x128_f8f6f4 a[60:63], v[148:151], v[20:23], a[60:63], v209, v201 op_sel_hi:[0,0,0] cbsz:4 blgp:4// 000000004710: D3AC7800 000393D1 D3AD8C3C 84F22994
	v_mfma_scale_f32_16x16x128_f8f6f4 a[0:3], v[152:155], v[24:27], a[0:3], v208, v200 op_sel_hi:[0,0,0] cbsz:4 blgp:4// 000000004720: D3AC6000 180391D0 D3AD8C00 84023198
	ds_read_b128 v[68:71], v217 offset:13248                   // 000000004730: D9FE33C0 440000D9
	v_mfma_scale_f32_16x16x128_f8f6f4 a[4:7], v[152:155], v[28:31], a[4:7], v208, v200 op_sel_hi:[0,0,0] cbsz:4 blgp:4// 000000004738: D3AC7000 180391D0 D3AD8C04 84123998
	buffer_load_dwordx4 v[88:91], v224, s[16:19], 0 offen      // 000000004748: E05C1000 800458E0
	v_mfma_scale_f32_16x16x128_f8f6f4 a[16:19], v[156:159], v[24:27], a[16:19], v208, v200 op_sel_hi:[0,0,0] cbsz:4 blgp:4// 000000004750: D3AC6800 180391D0 D3AD8C10 8442319C
	ds_read_b32 v202, v219 offset:1536                         // 000000004760: D86C0600 CA0000DB
	v_mfma_scale_f32_16x16x128_f8f6f4 a[20:23], v[156:159], v[28:31], a[20:23], v208, v200 op_sel_hi:[0,0,0] cbsz:4 blgp:4// 000000004768: D3AC7800 180391D0 D3AD8C14 8452399C
	v_mfma_scale_f32_16x16x128_f8f6f4 a[8:11], v[152:155], v[32:35], a[8:11], v208, v201 op_sel_hi:[0,0,0] cbsz:4 blgp:4// 000000004778: D3AC6000 180393D0 D3AD8C08 84224198
	ds_read_b32 v203, v219 offset:1792                         // 000000004788: D86C0700 CB0000DB
	v_mfma_scale_f32_16x16x128_f8f6f4 a[12:15], v[152:155], v[36:39], a[12:15], v208, v201 op_sel_hi:[0,0,0] cbsz:4 blgp:4// 000000004790: D3AC7000 180393D0 D3AD8C0C 84324998
	buffer_load_dwordx4 v[92:95], v225, s[16:19], 0 offen      // 0000000047A0: E05C1000 80045CE1
	v_mfma_scale_f32_16x16x128_f8f6f4 a[24:27], v[156:159], v[32:35], a[24:27], v208, v201 op_sel_hi:[0,0,0] cbsz:4 blgp:4// 0000000047A8: D3AC6800 180393D0 D3AD8C18 8462419C
	v_mfma_scale_f32_16x16x128_f8f6f4 a[28:31], v[156:159], v[36:39], a[28:31], v208, v201 op_sel_hi:[0,0,0] cbsz:4 blgp:4// 0000000047B8: D3AC7800 180393D0 D3AD8C1C 8472499C
	v_mfma_scale_f32_16x16x128_f8f6f4 a[32:35], v[160:163], v[24:27], a[32:35], v209, v200 op_sel_hi:[0,0,0] cbsz:4 blgp:4// 0000000047C8: D3AC6000 180391D1 D3AD8C20 848231A0
	v_mfma_scale_f32_16x16x128_f8f6f4 a[36:39], v[160:163], v[28:31], a[36:39], v209, v200 op_sel_hi:[0,0,0] cbsz:4 blgp:4// 0000000047D8: D3AC7000 180391D1 D3AD8C24 849239A0
	buffer_load_dwordx4 v[96:99], v226, s[16:19], 0 offen      // 0000000047E8: E05C1000 800460E2
	v_mfma_scale_f32_16x16x128_f8f6f4 a[48:51], v[164:167], v[24:27], a[48:51], v209, v200 op_sel_hi:[0,0,0] cbsz:4 blgp:4// 0000000047F0: D3AC6800 180391D1 D3AD8C30 84C231A4
	v_mfma_scale_f32_16x16x128_f8f6f4 a[52:55], v[164:167], v[28:31], a[52:55], v209, v200 op_sel_hi:[0,0,0] cbsz:4 blgp:4// 000000004800: D3AC7800 180391D1 D3AD8C34 84D239A4
	v_mfma_scale_f32_16x16x128_f8f6f4 a[40:43], v[160:163], v[32:35], a[40:43], v209, v201 op_sel_hi:[0,0,0] cbsz:4 blgp:4// 000000004810: D3AC6000 180393D1 D3AD8C28 84A241A0
	v_mfma_scale_f32_16x16x128_f8f6f4 a[44:47], v[160:163], v[36:39], a[44:47], v209, v201 op_sel_hi:[0,0,0] cbsz:4 blgp:4// 000000004820: D3AC7000 180393D1 D3AD8C2C 84B249A0
	buffer_load_dwordx4 v[100:103], v227, s[16:19], 0 offen    // 000000004830: E05C1000 800464E3
	v_mfma_scale_f32_16x16x128_f8f6f4 a[56:59], v[164:167], v[32:35], a[56:59], v209, v201 op_sel_hi:[0,0,0] cbsz:4 blgp:4// 000000004838: D3AC6800 180393D1 D3AD8C38 84E241A4
	v_mfma_scale_f32_16x16x128_f8f6f4 a[60:63], v[164:167], v[36:39], a[60:63], v209, v201 op_sel_hi:[0,0,0] cbsz:4 blgp:4// 000000004848: D3AC7800 180393D1 D3AD8C3C 84F249A4
	s_waitcnt vmcnt(13)                                        // 000000004858: BF8C0F7D
	v_mfma_scale_f32_16x16x128_f8f6f4 a[64:67], v[168:171], v[8:11], a[64:67], v210, v200 op_sel_hi:[0,0,0] cbsz:4 blgp:4// 00000000485C: D3AC6000 000391D2 D3AD8C40 850211A8
	s_add_u32 s62, 0x200, s60                                  // 00000000486C: 803E3CFF 00000200
	v_mfma_scale_f32_16x16x128_f8f6f4 a[68:71], v[168:171], v[12:15], a[68:71], v210, v200 op_sel_hi:[0,0,0] cbsz:4 blgp:4// 000000004874: D3AC7000 000391D2 D3AD8C44 851219A8
	buffer_load_dword v204, v236, s[24:27], 0 offen            // 000000004884: E0501000 8006CCEC
	v_mfma_scale_f32_16x16x128_f8f6f4 a[80:83], v[172:175], v[8:11], a[80:83], v210, v200 op_sel_hi:[0,0,0] cbsz:4 blgp:4// 00000000488C: D3AC6800 000391D2 D3AD8C50 854211AC
	s_cmp_lt_u32 s62, s61                                      // 00000000489C: BF0A3D3E
	v_mfma_scale_f32_16x16x128_f8f6f4 a[84:87], v[172:175], v[12:15], a[84:87], v210, v200 op_sel_hi:[0,0,0] cbsz:4 blgp:4// 0000000048A0: D3AC7800 000391D2 D3AD8C54 855219AC
	v_mfma_scale_f32_16x16x128_f8f6f4 a[72:75], v[168:171], v[16:19], a[72:75], v210, v201 op_sel_hi:[0,0,0] cbsz:4 blgp:4// 0000000048B0: D3AC6000 000393D2 D3AD8C48 852221A8
	s_cselect_b32 s69, s69, 0                                  // 0000000048C0: 85458045
	v_mfma_scale_f32_16x16x128_f8f6f4 a[76:79], v[168:171], v[20:23], a[76:79], v210, v201 op_sel_hi:[0,0,0] cbsz:4 blgp:4// 0000000048C4: D3AC7000 000393D2 D3AD8C4C 853229A8
	buffer_load_dword v205, v237, s[24:27], 0 offen            // 0000000048D4: E0501000 8006CDED
	v_mfma_scale_f32_16x16x128_f8f6f4 a[88:91], v[172:175], v[16:19], a[88:91], v210, v201 op_sel_hi:[0,0,0] cbsz:4 blgp:4// 0000000048DC: D3AC6800 000393D2 D3AD8C58 856221AC
	s_cselect_b32 s71, s71, 0                                  // 0000000048EC: 85478047
	v_mfma_scale_f32_16x16x128_f8f6f4 a[92:95], v[172:175], v[20:23], a[92:95], v210, v201 op_sel_hi:[0,0,0] cbsz:4 blgp:4// 0000000048F0: D3AC7800 000393D2 D3AD8C5C 857229AC
	v_mfma_scale_f32_16x16x128_f8f6f4 a[96:99], v[176:179], v[8:11], a[96:99], v211, v200 op_sel_hi:[0,0,0] cbsz:4 blgp:4// 000000004900: D3AC6000 000391D3 D3AD8C60 858211B0
	s_add_u32 s12, s12, s69                                    // 000000004910: 800C450C
	v_mfma_scale_f32_16x16x128_f8f6f4 a[100:103], v[176:179], v[12:15], a[100:103], v211, v200 op_sel_hi:[0,0,0] cbsz:4 blgp:4// 000000004914: D3AC7000 000391D3 D3AD8C64 859219B0
	buffer_load_dwordx4 v[104:107], v228, s[16:19], 0 offen    // 000000004924: E05C1000 800468E4
	v_mfma_scale_f32_16x16x128_f8f6f4 a[112:115], v[180:183], v[8:11], a[112:115], v211, v200 op_sel_hi:[0,0,0] cbsz:4 blgp:4// 00000000492C: D3AC6800 000391D3 D3AD8C70 85C211B4
	s_addc_u32 s13, 0, s13                                     // 00000000493C: 820D0D80
	v_mfma_scale_f32_16x16x128_f8f6f4 a[116:119], v[180:183], v[12:15], a[116:119], v211, v200 op_sel_hi:[0,0,0] cbsz:4 blgp:4// 000000004940: D3AC7800 000391D3 D3AD8C74 85D219B4
	v_mfma_scale_f32_16x16x128_f8f6f4 a[104:107], v[176:179], v[16:19], a[104:107], v211, v201 op_sel_hi:[0,0,0] cbsz:4 blgp:4// 000000004950: D3AC6000 000393D3 D3AD8C68 85A221B0
	s_sub_u32 s14, s14, s69                                    // 000000004960: 808E450E
	v_mfma_scale_f32_16x16x128_f8f6f4 a[108:111], v[176:179], v[20:23], a[108:111], v211, v201 op_sel_hi:[0,0,0] cbsz:4 blgp:4// 000000004964: D3AC7000 000393D3 D3AD8C6C 85B229B0
	buffer_load_dwordx4 v[108:111], v229, s[16:19], 0 offen    // 000000004974: E05C1000 80046CE5
	v_mfma_scale_f32_16x16x128_f8f6f4 a[120:123], v[180:183], v[16:19], a[120:123], v211, v201 op_sel_hi:[0,0,0] cbsz:4 blgp:4// 00000000497C: D3AC6800 000393D3 D3AD8C78 85E221B4
	s_add_u32 s20, s20, s71                                    // 00000000498C: 80144714
	v_mfma_scale_f32_16x16x128_f8f6f4 a[124:127], v[180:183], v[20:23], a[124:127], v211, v201 op_sel_hi:[0,0,0] cbsz:4 blgp:4// 000000004990: D3AC7800 000393D3 D3AD8C7C 85F229B4
	v_mfma_scale_f32_16x16x128_f8f6f4 a[64:67], v[184:187], v[24:27], a[64:67], v210, v200 op_sel_hi:[0,0,0] cbsz:4 blgp:4// 0000000049A0: D3AC6000 180391D2 D3AD8C40 850231B8
	s_addc_u32 s21, 0, s21                                     // 0000000049B0: 82151580
	v_mfma_scale_f32_16x16x128_f8f6f4 a[68:71], v[184:187], v[28:31], a[68:71], v210, v200 op_sel_hi:[0,0,0] cbsz:4 blgp:4// 0000000049B4: D3AC7000 180391D2 D3AD8C44 851239B8
	buffer_load_dwordx4 v[112:115], v230, s[16:19], 0 offen    // 0000000049C4: E05C1000 800470E6
	v_mfma_scale_f32_16x16x128_f8f6f4 a[80:83], v[188:191], v[24:27], a[80:83], v210, v200 op_sel_hi:[0,0,0] cbsz:4 blgp:4// 0000000049CC: D3AC6800 180391D2 D3AD8C50 854231BC
	s_sub_u32 s22, s22, s71                                    // 0000000049DC: 80964716
	v_mfma_scale_f32_16x16x128_f8f6f4 a[84:87], v[188:191], v[28:31], a[84:87], v210, v200 op_sel_hi:[0,0,0] cbsz:4 blgp:4// 0000000049E0: D3AC7800 180391D2 D3AD8C54 855239BC
	v_mfma_scale_f32_16x16x128_f8f6f4 a[72:75], v[184:187], v[32:35], a[72:75], v210, v201 op_sel_hi:[0,0,0] cbsz:4 blgp:4// 0000000049F0: D3AC6000 180393D2 D3AD8C48 852241B8
	v_mfma_scale_f32_16x16x128_f8f6f4 a[76:79], v[184:187], v[36:39], a[76:79], v210, v201 op_sel_hi:[0,0,0] cbsz:4 blgp:4// 000000004A00: D3AC7000 180393D2 D3AD8C4C 853249B8
	buffer_load_dwordx4 v[116:119], v231, s[16:19], 0 offen    // 000000004A10: E05C1000 800474E7
	v_mfma_scale_f32_16x16x128_f8f6f4 a[88:91], v[188:191], v[32:35], a[88:91], v210, v201 op_sel_hi:[0,0,0] cbsz:4 blgp:4// 000000004A18: D3AC6800 180393D2 D3AD8C58 856241BC
	v_mfma_scale_f32_16x16x128_f8f6f4 a[92:95], v[188:191], v[36:39], a[92:95], v210, v201 op_sel_hi:[0,0,0] cbsz:4 blgp:4// 000000004A28: D3AC7800 180393D2 D3AD8C5C 857249BC
	v_mfma_scale_f32_16x16x128_f8f6f4 a[96:99], v[192:195], v[24:27], a[96:99], v211, v200 op_sel_hi:[0,0,0] cbsz:4 blgp:4// 000000004A38: D3AC6000 180391D3 D3AD8C60 858231C0
	v_mfma_scale_f32_16x16x128_f8f6f4 a[100:103], v[192:195], v[28:31], a[100:103], v211, v200 op_sel_hi:[0,0,0] cbsz:4 blgp:4// 000000004A48: D3AC7000 180391D3 D3AD8C64 859239C0
	buffer_load_dwordx4 v[120:123], v232, s[16:19], 0 offen    // 000000004A58: E05C1000 800478E8
	v_mfma_scale_f32_16x16x128_f8f6f4 a[112:115], v[196:199], v[24:27], a[112:115], v211, v200 op_sel_hi:[0,0,0] cbsz:4 blgp:4// 000000004A60: D3AC6800 180391D3 D3AD8C70 85C231C4
	v_mfma_scale_f32_16x16x128_f8f6f4 a[116:119], v[196:199], v[28:31], a[116:119], v211, v200 op_sel_hi:[0,0,0] cbsz:4 blgp:4// 000000004A70: D3AC7800 180391D3 D3AD8C74 85D239C4
	v_mfma_scale_f32_16x16x128_f8f6f4 a[104:107], v[192:195], v[32:35], a[104:107], v211, v201 op_sel_hi:[0,0,0] cbsz:4 blgp:4// 000000004A80: D3AC6000 180393D3 D3AD8C68 85A241C0
	v_mfma_scale_f32_16x16x128_f8f6f4 a[108:111], v[192:195], v[36:39], a[108:111], v211, v201 op_sel_hi:[0,0,0] cbsz:4 blgp:4// 000000004A90: D3AC7000 180393D3 D3AD8C6C 85B249C0
	buffer_load_dwordx4 v[124:127], v233, s[16:19], 0 offen    // 000000004AA0: E05C1000 80047CE9
	v_mfma_scale_f32_16x16x128_f8f6f4 a[120:123], v[196:199], v[32:35], a[120:123], v211, v201 op_sel_hi:[0,0,0] cbsz:4 blgp:4// 000000004AA8: D3AC6800 180393D3 D3AD8C78 85E241C4
	v_mfma_scale_f32_16x16x128_f8f6f4 a[124:127], v[196:199], v[36:39], a[124:127], v211, v201 op_sel_hi:[0,0,0] cbsz:4 blgp:4// 000000004AB8: D3AC7800 180393D3 D3AD8C7C 85F249C4
	s_waitcnt vmcnt(18) lgkmcnt(0)                             // 000000004AC8: BF8C4072
	v_mfma_scale_f32_16x16x128_f8f6f4 a[128:131], v[136:139], v[40:43], a[128:131], v208, v202 op_sel_hi:[0,0,0] cbsz:4 blgp:4// 000000004ACC: D3AC6000 000395D0 D3AD8C80 86025188
	s_barrier                                                  // 000000004ADC: BF8A0000
	v_mfma_scale_f32_16x16x128_f8f6f4 a[132:135], v[136:139], v[44:47], a[132:135], v208, v202 op_sel_hi:[0,0,0] cbsz:4 blgp:4// 000000004AE0: D3AC7000 000395D0 D3AD8C84 86125988
	buffer_load_dwordx4 v[128:131], v234, s[16:19], 0 offen    // 000000004AF0: E05C1000 800480EA
	v_mfma_scale_f32_16x16x128_f8f6f4 a[144:147], v[140:143], v[40:43], a[144:147], v208, v202 op_sel_hi:[0,0,0] cbsz:4 blgp:4// 000000004AF8: D3AC6800 000395D0 D3AD8C90 8642518C
	ds_read_b128 v[8:11], v216                                 // 000000004B08: D9FE0000 080000D8
	v_mfma_scale_f32_16x16x128_f8f6f4 a[148:151], v[140:143], v[44:47], a[148:151], v208, v202 op_sel_hi:[0,0,0] cbsz:4 blgp:4// 000000004B10: D3AC7800 000395D0 D3AD8C94 8652598C
	v_mfma_scale_f32_16x16x128_f8f6f4 a[136:139], v[136:139], v[48:51], a[136:139], v208, v203 op_sel_hi:[0,0,0] cbsz:4 blgp:4// 000000004B20: D3AC6000 000397D0 D3AD8C88 86226188
	ds_read_b128 v[24:27], v216 offset:64                      // 000000004B30: D9FE0040 180000D8
	v_mfma_scale_f32_16x16x128_f8f6f4 a[140:143], v[136:139], v[52:55], a[140:143], v208, v203 op_sel_hi:[0,0,0] cbsz:4 blgp:4// 000000004B38: D3AC7000 000397D0 D3AD8C8C 86326988
	buffer_load_dwordx4 v[132:135], v235, s[16:19], 0 offen    // 000000004B48: E05C1000 800484EB
	v_mfma_scale_f32_16x16x128_f8f6f4 a[152:155], v[140:143], v[48:51], a[152:155], v208, v203 op_sel_hi:[0,0,0] cbsz:4 blgp:4// 000000004B50: D3AC6800 000397D0 D3AD8C98 8662618C
	ds_read_b128 v[12:15], v216 offset:512                     // 000000004B60: D9FE0200 0C0000D8
	v_mfma_scale_f32_16x16x128_f8f6f4 a[156:159], v[140:143], v[52:55], a[156:159], v208, v203 op_sel_hi:[0,0,0] cbsz:4 blgp:4// 000000004B68: D3AC7800 000397D0 D3AD8C9C 8672698C
	v_mfma_scale_f32_16x16x128_f8f6f4 a[160:163], v[144:147], v[40:43], a[160:163], v209, v202 op_sel_hi:[0,0,0] cbsz:4 blgp:4// 000000004B78: D3AC6000 000395D1 D3AD8CA0 86825190
	ds_read_b128 v[28:31], v216 offset:576                     // 000000004B88: D9FE0240 1C0000D8
	v_mfma_scale_f32_16x16x128_f8f6f4 a[164:167], v[144:147], v[44:47], a[164:167], v209, v202 op_sel_hi:[0,0,0] cbsz:4 blgp:4// 000000004B90: D3AC7000 000395D1 D3AD8CA4 86925990
	buffer_load_dword v206, v238, s[24:27], 0 offen            // 000000004BA0: E0501000 8006CEEE
	v_mfma_scale_f32_16x16x128_f8f6f4 a[176:179], v[148:151], v[40:43], a[176:179], v209, v202 op_sel_hi:[0,0,0] cbsz:4 blgp:4// 000000004BA8: D3AC6800 000395D1 D3AD8CB0 86C25194
	ds_read_b128 v[16:19], v216 offset:4224                    // 000000004BB8: D9FE1080 100000D8
	v_mfma_scale_f32_16x16x128_f8f6f4 a[180:183], v[148:151], v[44:47], a[180:183], v209, v202 op_sel_hi:[0,0,0] cbsz:4 blgp:4// 000000004BC0: D3AC7800 000395D1 D3AD8CB4 86D25994
	v_mfma_scale_f32_16x16x128_f8f6f4 a[168:171], v[144:147], v[48:51], a[168:171], v209, v203 op_sel_hi:[0,0,0] cbsz:4 blgp:4// 000000004BD0: D3AC6000 000397D1 D3AD8CA8 86A26190
	ds_read_b128 v[32:35], v216 offset:4288                    // 000000004BE0: D9FE10C0 200000D8
	v_mfma_scale_f32_16x16x128_f8f6f4 a[172:175], v[144:147], v[52:55], a[172:175], v209, v203 op_sel_hi:[0,0,0] cbsz:4 blgp:4// 000000004BE8: D3AC7000 000397D1 D3AD8CAC 86B26990
	buffer_load_dword v207, v239, s[24:27], 0 offen            // 000000004BF8: E0501000 8006CFEF
	v_mfma_scale_f32_16x16x128_f8f6f4 a[184:187], v[148:151], v[48:51], a[184:187], v209, v203 op_sel_hi:[0,0,0] cbsz:4 blgp:4// 000000004C00: D3AC6800 000397D1 D3AD8CB8 86E26194
	ds_read_b128 v[20:23], v216 offset:4736                    // 000000004C10: D9FE1280 140000D8
	v_mfma_scale_f32_16x16x128_f8f6f4 a[188:191], v[148:151], v[52:55], a[188:191], v209, v203 op_sel_hi:[0,0,0] cbsz:4 blgp:4// 000000004C18: D3AC7800 000397D1 D3AD8CBC 86F26994
	s_add_u32 m0, 0x4200, s67                                  // 000000004C28: 807C43FF 00004200
	v_mfma_scale_f32_16x16x128_f8f6f4 a[128:131], v[152:155], v[56:59], a[128:131], v208, v202 op_sel_hi:[0,0,0] cbsz:4 blgp:4// 000000004C30: D3AC6000 180395D0 D3AD8C80 86027198
	ds_read_b128 v[36:39], v216 offset:4800                    // 000000004C40: D9FE12C0 240000D8
	v_mfma_scale_f32_16x16x128_f8f6f4 a[132:135], v[152:155], v[60:63], a[132:135], v208, v202 op_sel_hi:[0,0,0] cbsz:4 blgp:4// 000000004C48: D3AC7000 180395D0 D3AD8C84 86127998
	buffer_load_dwordx4 v212, s[12:15], 0 offen lds            // 000000004C58: E05D1000 800300D4
	v_mfma_scale_f32_16x16x128_f8f6f4 a[144:147], v[156:159], v[56:59], a[144:147], v208, v202 op_sel_hi:[0,0,0] cbsz:4 blgp:4// 000000004C60: D3AC6800 180395D0 D3AD8C90 8642719C
	ds_read_b32 v200, v219                                     // 000000004C70: D86C0000 C80000DB
	v_mfma_scale_f32_16x16x128_f8f6f4 a[148:151], v[156:159], v[60:63], a[148:151], v208, v202 op_sel_hi:[0,0,0] cbsz:4 blgp:4// 000000004C78: D3AC7800 180395D0 D3AD8C94 8652799C
	s_add_u32 m0, 0x5280, s67                                  // 000000004C88: 807C43FF 00005280
	v_mfma_scale_f32_16x16x128_f8f6f4 a[136:139], v[152:155], v[64:67], a[136:139], v208, v203 op_sel_hi:[0,0,0] cbsz:4 blgp:4// 000000004C90: D3AC6000 180397D0 D3AD8C88 86228198
	ds_read_b32 v201, v219 offset:256                          // 000000004CA0: D86C0100 C90000DB
	v_mfma_scale_f32_16x16x128_f8f6f4 a[140:143], v[152:155], v[68:71], a[140:143], v208, v203 op_sel_hi:[0,0,0] cbsz:4 blgp:4// 000000004CA8: D3AC7000 180397D0 D3AD8C8C 86328998
	buffer_load_dwordx4 v213, s[12:15], 0 offen lds            // 000000004CB8: E05D1000 800300D5
	v_mfma_scale_f32_16x16x128_f8f6f4 a[152:155], v[156:159], v[64:67], a[152:155], v208, v203 op_sel_hi:[0,0,0] cbsz:4 blgp:4// 000000004CC0: D3AC6800 180397D0 D3AD8C98 8662819C
	v_mfma_scale_f32_16x16x128_f8f6f4 a[156:159], v[156:159], v[68:71], a[156:159], v208, v203 op_sel_hi:[0,0,0] cbsz:4 blgp:4// 000000004CD0: D3AC7800 180397D0 D3AD8C9C 8672899C
	s_add_u32 m0, 0x400, s68                                   // 000000004CE0: 807C44FF 00000400
	v_mfma_scale_f32_16x16x128_f8f6f4 a[160:163], v[160:163], v[56:59], a[160:163], v209, v202 op_sel_hi:[0,0,0] cbsz:4 blgp:4// 000000004CE8: D3AC6000 180395D1 D3AD8CA0 868271A0
	v_mfma_scale_f32_16x16x128_f8f6f4 a[164:167], v[160:163], v[60:63], a[164:167], v209, v202 op_sel_hi:[0,0,0] cbsz:4 blgp:4// 000000004CF8: D3AC7000 180395D1 D3AD8CA4 869279A0
	buffer_load_dword v218, s[20:23], 0 offen lds              // 000000004D08: E0511000 800500DA
	v_mfma_scale_f32_16x16x128_f8f6f4 a[176:179], v[164:167], v[56:59], a[176:179], v209, v202 op_sel_hi:[0,0,0] cbsz:4 blgp:4// 000000004D10: D3AC6800 180395D1 D3AD8CB0 86C271A4
	v_mfma_scale_f32_16x16x128_f8f6f4 a[180:183], v[164:167], v[60:63], a[180:183], v209, v202 op_sel_hi:[0,0,0] cbsz:4 blgp:4// 000000004D20: D3AC7800 180395D1 D3AD8CB4 86D279A4
	v_mfma_scale_f32_16x16x128_f8f6f4 a[168:171], v[160:163], v[64:67], a[168:171], v209, v203 op_sel_hi:[0,0,0] cbsz:4 blgp:4// 000000004D30: D3AC6000 180397D1 D3AD8CA8 86A281A0
	v_mfma_scale_f32_16x16x128_f8f6f4 a[172:175], v[160:163], v[68:71], a[172:175], v209, v203 op_sel_hi:[0,0,0] cbsz:4 blgp:4// 000000004D40: D3AC7000 180397D1 D3AD8CAC 86B289A0
	v_mfma_scale_f32_16x16x128_f8f6f4 a[184:187], v[164:167], v[64:67], a[184:187], v209, v203 op_sel_hi:[0,0,0] cbsz:4 blgp:4// 000000004D50: D3AC6800 180397D1 D3AD8CB8 86E281A4
	v_mfma_scale_f32_16x16x128_f8f6f4 a[188:191], v[164:167], v[68:71], a[188:191], v209, v203 op_sel_hi:[0,0,0] cbsz:4 blgp:4// 000000004D60: D3AC7800 180397D1 D3AD8CBC 86F289A4
	v_mfma_scale_f32_16x16x128_f8f6f4 a[192:195], v[168:171], v[40:43], a[192:195], v210, v202 op_sel_hi:[0,0,0] cbsz:4 blgp:4// 000000004D70: D3AC6000 000395D2 D3AD8CC0 870251A8
	v_mfma_scale_f32_16x16x128_f8f6f4 a[196:199], v[168:171], v[44:47], a[196:199], v210, v202 op_sel_hi:[0,0,0] cbsz:4 blgp:4// 000000004D80: D3AC7000 000395D2 D3AD8CC4 871259A8
	s_add_u32 m0, 0x6300, s67                                  // 000000004D90: 807C43FF 00006300
	v_mfma_scale_f32_16x16x128_f8f6f4 a[208:211], v[172:175], v[40:43], a[208:211], v210, v202 op_sel_hi:[0,0,0] cbsz:4 blgp:4// 000000004D98: D3AC6800 000395D2 D3AD8CD0 874251AC
	buffer_load_dwordx4 v214, s[12:15], 0 offen lds            // 000000004DA8: E05D1000 800300D6
	v_mfma_scale_f32_16x16x128_f8f6f4 a[212:215], v[172:175], v[44:47], a[212:215], v210, v202 op_sel_hi:[0,0,0] cbsz:4 blgp:4// 000000004DB0: D3AC7800 000395D2 D3AD8CD4 875259AC
	v_mfma_scale_f32_16x16x128_f8f6f4 a[200:203], v[168:171], v[48:51], a[200:203], v210, v203 op_sel_hi:[0,0,0] cbsz:4 blgp:4// 000000004DC0: D3AC6000 000397D2 D3AD8CC8 872261A8
	v_mfma_scale_f32_16x16x128_f8f6f4 a[204:207], v[168:171], v[52:55], a[204:207], v210, v203 op_sel_hi:[0,0,0] cbsz:4 blgp:4// 000000004DD0: D3AC7000 000397D2 D3AD8CCC 873269A8
	s_add_u32 m0, 0x7380, s67                                  // 000000004DE0: 807C43FF 00007380
	v_mfma_scale_f32_16x16x128_f8f6f4 a[216:219], v[172:175], v[48:51], a[216:219], v210, v203 op_sel_hi:[0,0,0] cbsz:4 blgp:4// 000000004DE8: D3AC6800 000397D2 D3AD8CD8 876261AC
	buffer_load_dwordx4 v215, s[12:15], 0 offen lds            // 000000004DF8: E05D1000 800300D7
	v_mfma_scale_f32_16x16x128_f8f6f4 a[220:223], v[172:175], v[52:55], a[220:223], v210, v203 op_sel_hi:[0,0,0] cbsz:4 blgp:4// 000000004E00: D3AC7800 000397D2 D3AD8CDC 877269AC
	v_mfma_scale_f32_16x16x128_f8f6f4 a[224:227], v[176:179], v[40:43], a[224:227], v211, v202 op_sel_hi:[0,0,0] cbsz:4 blgp:4// 000000004E10: D3AC6000 000395D3 D3AD8CE0 878251B0
	s_add_u32 s63, 0x200, s60                                  // 000000004E20: 803F3CFF 00000200
	v_mfma_scale_f32_16x16x128_f8f6f4 a[228:231], v[176:179], v[44:47], a[228:231], v211, v202 op_sel_hi:[0,0,0] cbsz:4 blgp:4// 000000004E28: D3AC7000 000395D3 D3AD8CE4 879259B0
	v_mfma_scale_f32_16x16x128_f8f6f4 a[240:243], v[180:183], v[40:43], a[240:243], v211, v202 op_sel_hi:[0,0,0] cbsz:4 blgp:4// 000000004E38: D3AC6800 000395D3 D3AD8CF0 87C251B4
	s_cmp_lt_u32 s63, s61                                      // 000000004E48: BF0A3D3F
	v_mfma_scale_f32_16x16x128_f8f6f4 a[244:247], v[180:183], v[44:47], a[244:247], v211, v202 op_sel_hi:[0,0,0] cbsz:4 blgp:4// 000000004E4C: D3AC7800 000395D3 D3AD8CF4 87D259B4
	v_mfma_scale_f32_16x16x128_f8f6f4 a[232:235], v[176:179], v[48:51], a[232:235], v211, v203 op_sel_hi:[0,0,0] cbsz:4 blgp:4// 000000004E5C: D3AC6000 000397D3 D3AD8CE8 87A261B0
	s_cselect_b32 s70, s70, 0                                  // 000000004E6C: 85468046
	v_mfma_scale_f32_16x16x128_f8f6f4 a[236:239], v[176:179], v[52:55], a[236:239], v211, v203 op_sel_hi:[0,0,0] cbsz:4 blgp:4// 000000004E70: D3AC7000 000397D3 D3AD8CEC 87B269B0
	v_mfma_scale_f32_16x16x128_f8f6f4 a[248:251], v[180:183], v[48:51], a[248:251], v211, v203 op_sel_hi:[0,0,0] cbsz:4 blgp:4// 000000004E80: D3AC6800 000397D3 D3AD8CF8 87E261B4
	s_cselect_b32 s72, s72, 0                                  // 000000004E90: 85488048
	v_mfma_scale_f32_16x16x128_f8f6f4 a[252:255], v[180:183], v[52:55], a[252:255], v211, v203 op_sel_hi:[0,0,0] cbsz:4 blgp:4// 000000004E94: D3AC7800 000397D3 D3AD8CFC 87F269B4
	v_mfma_scale_f32_16x16x128_f8f6f4 a[192:195], v[184:187], v[56:59], a[192:195], v210, v202 op_sel_hi:[0,0,0] cbsz:4 blgp:4// 000000004EA4: D3AC6000 180395D2 D3AD8CC0 870271B8
	s_add_u32 s16, s16, s70                                    // 000000004EB4: 80104610
	v_mfma_scale_f32_16x16x128_f8f6f4 a[196:199], v[184:187], v[60:63], a[196:199], v210, v202 op_sel_hi:[0,0,0] cbsz:4 blgp:4// 000000004EB8: D3AC7000 180395D2 D3AD8CC4 871279B8
	v_mfma_scale_f32_16x16x128_f8f6f4 a[208:211], v[188:191], v[56:59], a[208:211], v210, v202 op_sel_hi:[0,0,0] cbsz:4 blgp:4// 000000004EC8: D3AC6800 180395D2 D3AD8CD0 874271BC
	s_addc_u32 s17, 0, s17                                     // 000000004ED8: 82111180
	v_mfma_scale_f32_16x16x128_f8f6f4 a[212:215], v[188:191], v[60:63], a[212:215], v210, v202 op_sel_hi:[0,0,0] cbsz:4 blgp:4// 000000004EDC: D3AC7800 180395D2 D3AD8CD4 875279BC
	v_mfma_scale_f32_16x16x128_f8f6f4 a[200:203], v[184:187], v[64:67], a[200:203], v210, v203 op_sel_hi:[0,0,0] cbsz:4 blgp:4// 000000004EEC: D3AC6000 180397D2 D3AD8CC8 872281B8
	s_sub_u32 s18, s18, s70                                    // 000000004EFC: 80924612
	v_mfma_scale_f32_16x16x128_f8f6f4 a[204:207], v[184:187], v[68:71], a[204:207], v210, v203 op_sel_hi:[0,0,0] cbsz:4 blgp:4// 000000004F00: D3AC7000 180397D2 D3AD8CCC 873289B8
	v_mfma_scale_f32_16x16x128_f8f6f4 a[216:219], v[188:191], v[64:67], a[216:219], v210, v203 op_sel_hi:[0,0,0] cbsz:4 blgp:4// 000000004F10: D3AC6800 180397D2 D3AD8CD8 876281BC
	s_add_u32 s24, s24, s72                                    // 000000004F20: 80184818
	v_mfma_scale_f32_16x16x128_f8f6f4 a[220:223], v[188:191], v[68:71], a[220:223], v210, v203 op_sel_hi:[0,0,0] cbsz:4 blgp:4// 000000004F24: D3AC7800 180397D2 D3AD8CDC 877289BC
	v_mfma_scale_f32_16x16x128_f8f6f4 a[224:227], v[192:195], v[56:59], a[224:227], v211, v202 op_sel_hi:[0,0,0] cbsz:4 blgp:4// 000000004F34: D3AC6000 180395D3 D3AD8CE0 878271C0
	s_addc_u32 s25, 0, s25                                     // 000000004F44: 82191980
	v_mfma_scale_f32_16x16x128_f8f6f4 a[228:231], v[192:195], v[60:63], a[228:231], v211, v202 op_sel_hi:[0,0,0] cbsz:4 blgp:4// 000000004F48: D3AC7000 180395D3 D3AD8CE4 879279C0
	v_mfma_scale_f32_16x16x128_f8f6f4 a[240:243], v[196:199], v[56:59], a[240:243], v211, v202 op_sel_hi:[0,0,0] cbsz:4 blgp:4// 000000004F58: D3AC6800 180395D3 D3AD8CF0 87C271C4
	s_sub_u32 s26, s26, s72                                    // 000000004F68: 809A481A
	v_mfma_scale_f32_16x16x128_f8f6f4 a[244:247], v[196:199], v[60:63], a[244:247], v211, v202 op_sel_hi:[0,0,0] cbsz:4 blgp:4// 000000004F6C: D3AC7800 180395D3 D3AD8CF4 87D279C4
	v_mfma_scale_f32_16x16x128_f8f6f4 a[232:235], v[192:195], v[64:67], a[232:235], v211, v203 op_sel_hi:[0,0,0] cbsz:4 blgp:4// 000000004F7C: D3AC6000 180397D3 D3AD8CE8 87A281C0
	s_addk_i32 s60, 0x100                                      // 000000004F8C: B73C0100
	v_mfma_scale_f32_16x16x128_f8f6f4 a[236:239], v[192:195], v[68:71], a[236:239], v211, v203 op_sel_hi:[0,0,0] cbsz:4 blgp:4// 000000004F90: D3AC7000 180397D3 D3AD8CEC 87B289C0
	v_mfma_scale_f32_16x16x128_f8f6f4 a[248:251], v[196:199], v[64:67], a[248:251], v211, v203 op_sel_hi:[0,0,0] cbsz:4 blgp:4// 000000004FA0: D3AC6800 180397D3 D3AD8CF8 87E281C4
	s_cmp_lt_i32 s60, s61                                      // 000000004FB0: BF043D3C
	v_mfma_scale_f32_16x16x128_f8f6f4 a[252:255], v[196:199], v[68:71], a[252:255], v211, v203 op_sel_hi:[0,0,0] cbsz:4 blgp:4// 000000004FB4: D3AC7800 180397D3 D3AD8CFC 87F289C4
	s_cbranch_scc0 label_0DF7                                  // 000000004FC4: BF840504
	s_branch label_03F0                                        // 000000004FC8: BF82FAFD

0000000000004fcc <label_08F4>:
	s_waitcnt vmcnt(15) lgkmcnt(0)                             // 000000004FCC: BF8C007F
	v_mfma_scale_f32_16x16x128_f8f6f4 a[0:3], v[72:75], v[8:11], a[0:3], v204, v200 op_sel_hi:[0,0,0] cbsz:4 blgp:4// 000000004FD0: D3AC6000 000391CC D3AD8C00 84021148
	s_barrier                                                  // 000000004FE0: BF8A0000
	v_mfma_scale_f32_16x16x128_f8f6f4 a[4:7], v[72:75], v[12:15], a[4:7], v204, v200 op_sel_hi:[0,0,0] cbsz:4 blgp:4// 000000004FE4: D3AC7000 000391CC D3AD8C04 84121948
	ds_read_b128 v[40:43], v216 offset:8448                    // 000000004FF4: D9FE2100 280000D8
	v_mfma_scale_f32_16x16x128_f8f6f4 a[16:19], v[76:79], v[8:11], a[16:19], v204, v200 op_sel_hi:[0,0,0] cbsz:4 blgp:4// 000000004FFC: D3AC6800 000391CC D3AD8C10 8442114C
	buffer_load_dwordx4 v[136:139], v220, s[16:19], 0 offen    // 00000000500C: E05C1000 800488DC
	v_mfma_scale_f32_16x16x128_f8f6f4 a[20:23], v[76:79], v[12:15], a[20:23], v204, v200 op_sel_hi:[0,0,0] cbsz:4 blgp:4// 000000005014: D3AC7800 000391CC D3AD8C14 8452194C
	ds_read_b128 v[56:59], v216 offset:8512                    // 000000005024: D9FE2140 380000D8
	v_mfma_scale_f32_16x16x128_f8f6f4 a[8:11], v[72:75], v[16:19], a[8:11], v204, v201 op_sel_hi:[0,0,0] cbsz:4 blgp:4// 00000000502C: D3AC6000 000393CC D3AD8C08 84222148
	v_mfma_scale_f32_16x16x128_f8f6f4 a[12:15], v[72:75], v[20:23], a[12:15], v204, v201 op_sel_hi:[0,0,0] cbsz:4 blgp:4// 00000000503C: D3AC7000 000393CC D3AD8C0C 84322948
	ds_read_b128 v[44:47], v216 offset:8960                    // 00000000504C: D9FE2300 2C0000D8
	v_mfma_scale_f32_16x16x128_f8f6f4 a[24:27], v[76:79], v[16:19], a[24:27], v204, v201 op_sel_hi:[0,0,0] cbsz:4 blgp:4// 000000005054: D3AC6800 000393CC D3AD8C18 8462214C
	buffer_load_dwordx4 v[140:143], v221, s[16:19], 0 offen    // 000000005064: E05C1000 80048CDD
	v_mfma_scale_f32_16x16x128_f8f6f4 a[28:31], v[76:79], v[20:23], a[28:31], v204, v201 op_sel_hi:[0,0,0] cbsz:4 blgp:4// 00000000506C: D3AC7800 000393CC D3AD8C1C 8472294C
	ds_read_b128 v[60:63], v216 offset:9024                    // 00000000507C: D9FE2340 3C0000D8
	v_mfma_scale_f32_16x16x128_f8f6f4 a[32:35], v[80:83], v[8:11], a[32:35], v205, v200 op_sel_hi:[0,0,0] cbsz:4 blgp:4// 000000005084: D3AC6000 000391CD D3AD8C20 84821150
	v_mfma_scale_f32_16x16x128_f8f6f4 a[36:39], v[80:83], v[12:15], a[36:39], v205, v200 op_sel_hi:[0,0,0] cbsz:4 blgp:4// 000000005094: D3AC7000 000391CD D3AD8C24 84921950
	ds_read_b128 v[48:51], v216 offset:12672                   // 0000000050A4: D9FE3180 300000D8
	v_mfma_scale_f32_16x16x128_f8f6f4 a[48:51], v[84:87], v[8:11], a[48:51], v205, v200 op_sel_hi:[0,0,0] cbsz:4 blgp:4// 0000000050AC: D3AC6800 000391CD D3AD8C30 84C21154
	buffer_load_dwordx4 v[144:147], v222, s[16:19], 0 offen    // 0000000050BC: E05C1000 800490DE
	v_mfma_scale_f32_16x16x128_f8f6f4 a[52:55], v[84:87], v[12:15], a[52:55], v205, v200 op_sel_hi:[0,0,0] cbsz:4 blgp:4// 0000000050C4: D3AC7800 000391CD D3AD8C34 84D21954
	ds_read_b128 v[64:67], v216 offset:12736                   // 0000000050D4: D9FE31C0 400000D8
	v_mfma_scale_f32_16x16x128_f8f6f4 a[40:43], v[80:83], v[16:19], a[40:43], v205, v201 op_sel_hi:[0,0,0] cbsz:4 blgp:4// 0000000050DC: D3AC6000 000393CD D3AD8C28 84A22150
	v_mfma_scale_f32_16x16x128_f8f6f4 a[44:47], v[80:83], v[20:23], a[44:47], v205, v201 op_sel_hi:[0,0,0] cbsz:4 blgp:4// 0000000050EC: D3AC7000 000393CD D3AD8C2C 84B22950
	ds_read_b128 v[52:55], v216 offset:13184                   // 0000000050FC: D9FE3380 340000D8
	v_mfma_scale_f32_16x16x128_f8f6f4 a[56:59], v[84:87], v[16:19], a[56:59], v205, v201 op_sel_hi:[0,0,0] cbsz:4 blgp:4// 000000005104: D3AC6800 000393CD D3AD8C38 84E22154
	buffer_load_dwordx4 v[148:151], v223, s[16:19], 0 offen    // 000000005114: E05C1000 800494DF
	v_mfma_scale_f32_16x16x128_f8f6f4 a[60:63], v[84:87], v[20:23], a[60:63], v205, v201 op_sel_hi:[0,0,0] cbsz:4 blgp:4// 00000000511C: D3AC7800 000393CD D3AD8C3C 84F22954
	ds_read_b128 v[68:71], v216 offset:13248                   // 00000000512C: D9FE33C0 440000D8
	v_mfma_scale_f32_16x16x128_f8f6f4 a[0:3], v[88:91], v[24:27], a[0:3], v204, v200 op_sel_hi:[0,0,0] cbsz:4 blgp:4// 000000005134: D3AC6000 180391CC D3AD8C00 84023158
	v_mfma_scale_f32_16x16x128_f8f6f4 a[4:7], v[88:91], v[28:31], a[4:7], v204, v200 op_sel_hi:[0,0,0] cbsz:4 blgp:4// 000000005144: D3AC7000 180391CC D3AD8C04 84123958
	ds_read_b32 v202, v219 offset:512                          // 000000005154: D86C0200 CA0000DB
	v_mfma_scale_f32_16x16x128_f8f6f4 a[16:19], v[92:95], v[24:27], a[16:19], v204, v200 op_sel_hi:[0,0,0] cbsz:4 blgp:4// 00000000515C: D3AC6800 180391CC D3AD8C10 8442315C
	buffer_load_dwordx4 v[152:155], v224, s[16:19], 0 offen    // 00000000516C: E05C1000 800498E0
	v_mfma_scale_f32_16x16x128_f8f6f4 a[20:23], v[92:95], v[28:31], a[20:23], v204, v200 op_sel_hi:[0,0,0] cbsz:4 blgp:4// 000000005174: D3AC7800 180391CC D3AD8C14 8452395C
	ds_read_b32 v203, v219 offset:768                          // 000000005184: D86C0300 CB0000DB
	v_mfma_scale_f32_16x16x128_f8f6f4 a[8:11], v[88:91], v[32:35], a[8:11], v204, v201 op_sel_hi:[0,0,0] cbsz:4 blgp:4// 00000000518C: D3AC6000 180393CC D3AD8C08 84224158
	v_mfma_scale_f32_16x16x128_f8f6f4 a[12:15], v[88:91], v[36:39], a[12:15], v204, v201 op_sel_hi:[0,0,0] cbsz:4 blgp:4// 00000000519C: D3AC7000 180393CC D3AD8C0C 84324958
	v_mfma_scale_f32_16x16x128_f8f6f4 a[24:27], v[92:95], v[32:35], a[24:27], v204, v201 op_sel_hi:[0,0,0] cbsz:4 blgp:4// 0000000051AC: D3AC6800 180393CC D3AD8C18 8462415C
	buffer_load_dwordx4 v[156:159], v225, s[16:19], 0 offen    // 0000000051BC: E05C1000 80049CE1
	v_mfma_scale_f32_16x16x128_f8f6f4 a[28:31], v[92:95], v[36:39], a[28:31], v204, v201 op_sel_hi:[0,0,0] cbsz:4 blgp:4// 0000000051C4: D3AC7800 180393CC D3AD8C1C 8472495C
	v_mfma_scale_f32_16x16x128_f8f6f4 a[32:35], v[96:99], v[24:27], a[32:35], v205, v200 op_sel_hi:[0,0,0] cbsz:4 blgp:4// 0000000051D4: D3AC6000 180391CD D3AD8C20 84823160
	v_mfma_scale_f32_16x16x128_f8f6f4 a[36:39], v[96:99], v[28:31], a[36:39], v205, v200 op_sel_hi:[0,0,0] cbsz:4 blgp:4// 0000000051E4: D3AC7000 180391CD D3AD8C24 84923960
	v_mfma_scale_f32_16x16x128_f8f6f4 a[48:51], v[100:103], v[24:27], a[48:51], v205, v200 op_sel_hi:[0,0,0] cbsz:4 blgp:4// 0000000051F4: D3AC6800 180391CD D3AD8C30 84C23164
	buffer_load_dwordx4 v[160:163], v226, s[16:19], 0 offen    // 000000005204: E05C1000 8004A0E2
	v_mfma_scale_f32_16x16x128_f8f6f4 a[52:55], v[100:103], v[28:31], a[52:55], v205, v200 op_sel_hi:[0,0,0] cbsz:4 blgp:4// 00000000520C: D3AC7800 180391CD D3AD8C34 84D23964
	v_mfma_scale_f32_16x16x128_f8f6f4 a[40:43], v[96:99], v[32:35], a[40:43], v205, v201 op_sel_hi:[0,0,0] cbsz:4 blgp:4// 00000000521C: D3AC6000 180393CD D3AD8C28 84A24160
	v_mfma_scale_f32_16x16x128_f8f6f4 a[44:47], v[96:99], v[36:39], a[44:47], v205, v201 op_sel_hi:[0,0,0] cbsz:4 blgp:4// 00000000522C: D3AC7000 180393CD D3AD8C2C 84B24960
	v_mfma_scale_f32_16x16x128_f8f6f4 a[56:59], v[100:103], v[32:35], a[56:59], v205, v201 op_sel_hi:[0,0,0] cbsz:4 blgp:4// 00000000523C: D3AC6800 180393CD D3AD8C38 84E24164
	buffer_load_dwordx4 v[164:167], v227, s[16:19], 0 offen    // 00000000524C: E05C1000 8004A4E3
	v_mfma_scale_f32_16x16x128_f8f6f4 a[60:63], v[100:103], v[36:39], a[60:63], v205, v201 op_sel_hi:[0,0,0] cbsz:4 blgp:4// 000000005254: D3AC7800 180393CD D3AD8C3C 84F24964
	s_waitcnt vmcnt(13)                                        // 000000005264: BF8C0F7D
	v_mfma_scale_f32_16x16x128_f8f6f4 a[64:67], v[104:107], v[8:11], a[64:67], v206, v200 op_sel_hi:[0,0,0] cbsz:4 blgp:4// 000000005268: D3AC6000 000391CE D3AD8C40 85021168
	s_add_u32 s62, 0x200, s60                                  // 000000005278: 803E3CFF 00000200
	v_mfma_scale_f32_16x16x128_f8f6f4 a[68:71], v[104:107], v[12:15], a[68:71], v206, v200 op_sel_hi:[0,0,0] cbsz:4 blgp:4// 000000005280: D3AC7000 000391CE D3AD8C44 85121968
	v_mfma_scale_f32_16x16x128_f8f6f4 a[80:83], v[108:111], v[8:11], a[80:83], v206, v200 op_sel_hi:[0,0,0] cbsz:4 blgp:4// 000000005290: D3AC6800 000391CE D3AD8C50 8542116C
	s_cmp_lt_u32 s62, s61                                      // 0000000052A0: BF0A3D3E
	v_mfma_scale_f32_16x16x128_f8f6f4 a[84:87], v[108:111], v[12:15], a[84:87], v206, v200 op_sel_hi:[0,0,0] cbsz:4 blgp:4// 0000000052A4: D3AC7800 000391CE D3AD8C54 8552196C
	buffer_load_dword v208, v236, s[24:27], 0 offen            // 0000000052B4: E0501000 8006D0EC
	v_mfma_scale_f32_16x16x128_f8f6f4 a[72:75], v[104:107], v[16:19], a[72:75], v206, v201 op_sel_hi:[0,0,0] cbsz:4 blgp:4// 0000000052BC: D3AC6000 000393CE D3AD8C48 85222168
	s_cselect_b32 s69, s69, 0                                  // 0000000052CC: 85458045
	v_mfma_scale_f32_16x16x128_f8f6f4 a[76:79], v[104:107], v[20:23], a[76:79], v206, v201 op_sel_hi:[0,0,0] cbsz:4 blgp:4// 0000000052D0: D3AC7000 000393CE D3AD8C4C 85322968
	v_mfma_scale_f32_16x16x128_f8f6f4 a[88:91], v[108:111], v[16:19], a[88:91], v206, v201 op_sel_hi:[0,0,0] cbsz:4 blgp:4// 0000000052E0: D3AC6800 000393CE D3AD8C58 8562216C
	s_cselect_b32 s71, s71, 0                                  // 0000000052F0: 85478047
	v_mfma_scale_f32_16x16x128_f8f6f4 a[92:95], v[108:111], v[20:23], a[92:95], v206, v201 op_sel_hi:[0,0,0] cbsz:4 blgp:4// 0000000052F4: D3AC7800 000393CE D3AD8C5C 8572296C
	buffer_load_dword v209, v237, s[24:27], 0 offen            // 000000005304: E0501000 8006D1ED
	v_mfma_scale_f32_16x16x128_f8f6f4 a[96:99], v[112:115], v[8:11], a[96:99], v207, v200 op_sel_hi:[0,0,0] cbsz:4 blgp:4// 00000000530C: D3AC6000 000391CF D3AD8C60 85821170
	s_add_u32 s12, s12, s69                                    // 00000000531C: 800C450C
	v_mfma_scale_f32_16x16x128_f8f6f4 a[100:103], v[112:115], v[12:15], a[100:103], v207, v200 op_sel_hi:[0,0,0] cbsz:4 blgp:4// 000000005320: D3AC7000 000391CF D3AD8C64 85921970
	v_mfma_scale_f32_16x16x128_f8f6f4 a[112:115], v[116:119], v[8:11], a[112:115], v207, v200 op_sel_hi:[0,0,0] cbsz:4 blgp:4// 000000005330: D3AC6800 000391CF D3AD8C70 85C21174
	s_addc_u32 s13, 0, s13                                     // 000000005340: 820D0D80
	v_mfma_scale_f32_16x16x128_f8f6f4 a[116:119], v[116:119], v[12:15], a[116:119], v207, v200 op_sel_hi:[0,0,0] cbsz:4 blgp:4// 000000005344: D3AC7800 000391CF D3AD8C74 85D21974
	buffer_load_dwordx4 v[168:171], v228, s[16:19], 0 offen    // 000000005354: E05C1000 8004A8E4
	v_mfma_scale_f32_16x16x128_f8f6f4 a[104:107], v[112:115], v[16:19], a[104:107], v207, v201 op_sel_hi:[0,0,0] cbsz:4 blgp:4// 00000000535C: D3AC6000 000393CF D3AD8C68 85A22170
	s_sub_u32 s14, s14, s69                                    // 00000000536C: 808E450E
	v_mfma_scale_f32_16x16x128_f8f6f4 a[108:111], v[112:115], v[20:23], a[108:111], v207, v201 op_sel_hi:[0,0,0] cbsz:4 blgp:4// 000000005370: D3AC7000 000393CF D3AD8C6C 85B22970
	v_mfma_scale_f32_16x16x128_f8f6f4 a[120:123], v[116:119], v[16:19], a[120:123], v207, v201 op_sel_hi:[0,0,0] cbsz:4 blgp:4// 000000005380: D3AC6800 000393CF D3AD8C78 85E22174
	s_add_u32 s20, s20, s71                                    // 000000005390: 80144714
	v_mfma_scale_f32_16x16x128_f8f6f4 a[124:127], v[116:119], v[20:23], a[124:127], v207, v201 op_sel_hi:[0,0,0] cbsz:4 blgp:4// 000000005394: D3AC7800 000393CF D3AD8C7C 85F22974
	buffer_load_dwordx4 v[172:175], v229, s[16:19], 0 offen    // 0000000053A4: E05C1000 8004ACE5
	v_mfma_scale_f32_16x16x128_f8f6f4 a[64:67], v[120:123], v[24:27], a[64:67], v206, v200 op_sel_hi:[0,0,0] cbsz:4 blgp:4// 0000000053AC: D3AC6000 180391CE D3AD8C40 85023178
	s_addc_u32 s21, 0, s21                                     // 0000000053BC: 82151580
	v_mfma_scale_f32_16x16x128_f8f6f4 a[68:71], v[120:123], v[28:31], a[68:71], v206, v200 op_sel_hi:[0,0,0] cbsz:4 blgp:4// 0000000053C0: D3AC7000 180391CE D3AD8C44 85123978
	v_mfma_scale_f32_16x16x128_f8f6f4 a[80:83], v[124:127], v[24:27], a[80:83], v206, v200 op_sel_hi:[0,0,0] cbsz:4 blgp:4// 0000000053D0: D3AC0800 180391CE D3AD8C50 8542317C
	s_sub_u32 s22, s22, s71                                    // 0000000053E0: 80964716
	v_mfma_scale_f32_16x16x128_f8f6f4 a[84:87], v[124:127], v[28:31], a[84:87], v206, v200 op_sel_hi:[0,0,0] cbsz:4 blgp:4// 0000000053E4: D3AC7800 180391CE D3AD8C54 8552397C
	buffer_load_dwordx4 v[176:179], v230, s[16:19], 0 offen    // 0000000053F4: E05C1000 8004B0E6
	v_mfma_scale_f32_16x16x128_f8f6f4 a[72:75], v[120:123], v[32:35], a[72:75], v206, v201 op_sel_hi:[0,0,0] cbsz:4 blgp:4// 0000000053FC: D3AC6000 180393CE D3AD8C48 85224178
	v_mfma_scale_f32_16x16x128_f8f6f4 a[76:79], v[120:123], v[36:39], a[76:79], v206, v201 op_sel_hi:[0,0,0] cbsz:4 blgp:4// 00000000540C: D3AC7000 180393CE D3AD8C4C 85324978
	v_mfma_scale_f32_16x16x128_f8f6f4 a[88:91], v[124:127], v[32:35], a[88:91], v206, v201 op_sel_hi:[0,0,0] cbsz:4 blgp:4// 00000000541C: D3AC6800 180393CE D3AD8C58 8562417C
	v_mfma_scale_f32_16x16x128_f8f6f4 a[92:95], v[124:127], v[36:39], a[92:95], v206, v201 op_sel_hi:[0,0,0] cbsz:4 blgp:4// 00000000542C: D3AC7800 180393CE D3AD8C5C 8572497C
	buffer_load_dwordx4 v[180:183], v231, s[16:19], 0 offen    // 00000000543C: E05C1000 8004B4E7
	v_mfma_scale_f32_16x16x128_f8f6f4 a[96:99], v[128:131], v[24:27], a[96:99], v207, v200 op_sel_hi:[0,0,0] cbsz:4 blgp:4// 000000005444: D3AC6000 180391CF D3AD8C60 85823180
	v_mfma_scale_f32_16x16x128_f8f6f4 a[100:103], v[128:131], v[28:31], a[100:103], v207, v200 op_sel_hi:[0,0,0] cbsz:4 blgp:4// 000000005454: D3AC7000 180391CF D3AD8C64 85923980
	v_mfma_scale_f32_16x16x128_f8f6f4 a[112:115], v[132:135], v[24:27], a[112:115], v207, v200 op_sel_hi:[0,0,0] cbsz:4 blgp:4// 000000005464: D3AC6800 180391CF D3AD8C70 85C23184
	v_mfma_scale_f32_16x16x128_f8f6f4 a[116:119], v[132:135], v[28:31], a[116:119], v207, v200 op_sel_hi:[0,0,0] cbsz:4 blgp:4// 000000005474: D3AC7800 180391CF D3AD8C74 85D23984
	buffer_load_dwordx4 v[184:187], v232, s[16:19], 0 offen    // 000000005484: E05C1000 8004B8E8
	v_mfma_scale_f32_16x16x128_f8f6f4 a[104:107], v[128:131], v[32:35], a[104:107], v207, v201 op_sel_hi:[0,0,0] cbsz:4 blgp:4// 00000000548C: D3AC6000 180393CF D3AD8C68 85A24180
	v_mfma_scale_f32_16x16x128_f8f6f4 a[108:111], v[128:131], v[36:39], a[108:111], v207, v201 op_sel_hi:[0,0,0] cbsz:4 blgp:4// 00000000549C: D3AC7000 180393CF D3AD8C6C 85B24980
	v_mfma_scale_f32_16x16x128_f8f6f4 a[120:123], v[132:135], v[32:35], a[120:123], v207, v201 op_sel_hi:[0,0,0] cbsz:4 blgp:4// 0000000054AC: D3AC6800 180393CF D3AD8C78 85E24184
	v_mfma_scale_f32_16x16x128_f8f6f4 a[124:127], v[132:135], v[36:39], a[124:127], v207, v201 op_sel_hi:[0,0,0] cbsz:4 blgp:4// 0000000054BC: D3AC7800 180393CF D3AD8C7C 85F24984
	buffer_load_dwordx4 v[188:191], v233, s[16:19], 0 offen    // 0000000054CC: E05C1000 8004BCE9
	s_waitcnt vmcnt(18) lgkmcnt(0)                             // 0000000054D4: BF8C4072
	v_mfma_scale_f32_16x16x128_f8f6f4 a[128:131], v[72:75], v[40:43], a[128:131], v204, v202 op_sel_hi:[0,0,0] cbsz:4 blgp:4// 0000000054D8: D3AC6000 000395CC D3AD8C80 86025148
	s_barrier                                                  // 0000000054E8: BF8A0000
	v_mfma_scale_f32_16x16x128_f8f6f4 a[132:135], v[72:75], v[44:47], a[132:135], v204, v202 op_sel_hi:[0,0,0] cbsz:4 blgp:4// 0000000054EC: D3AC7000 000395CC D3AD8C84 86125948
	ds_read_b128 v[8:11], v217                                 // 0000000054FC: D9FE0000 080000D9
	v_mfma_scale_f32_16x16x128_f8f6f4 a[144:147], v[76:79], v[40:43], a[144:147], v204, v202 op_sel_hi:[0,0,0] cbsz:4 blgp:4// 000000005504: D3AC6800 000395CC D3AD8C90 8642514C
	buffer_load_dwordx4 v[192:195], v234, s[16:19], 0 offen    // 000000005514: E05C1000 8004C0EA
	v_mfma_scale_f32_16x16x128_f8f6f4 a[148:151], v[76:79], v[44:47], a[148:151], v204, v202 op_sel_hi:[0,0,0] cbsz:4 blgp:4// 00000000551C: D3AC7800 000395CC D3AD8C94 8652594C
	ds_read_b128 v[24:27], v217 offset:64                      // 00000000552C: D9FE0040 180000D9
	v_mfma_scale_f32_16x16x128_f8f6f4 a[136:139], v[72:75], v[48:51], a[136:139], v204, v203 op_sel_hi:[0,0,0] cbsz:4 blgp:4// 000000005534: D3AC6000 000397CC D3AD8C88 86226148
	v_mfma_scale_f32_16x16x128_f8f6f4 a[140:143], v[72:75], v[52:55], a[140:143], v204, v203 op_sel_hi:[0,0,0] cbsz:4 blgp:4// 000000005544: D3AC7000 000397CC D3AD8C8C 86326948
	ds_read_b128 v[12:15], v217 offset:512                     // 000000005554: D9FE0200 0C0000D9
	v_mfma_scale_f32_16x16x128_f8f6f4 a[152:155], v[76:79], v[48:51], a[152:155], v204, v203 op_sel_hi:[0,0,0] cbsz:4 blgp:4// 00000000555C: D3AC6800 000397CC D3AD8C98 8662614C
	buffer_load_dwordx4 v[196:199], v235, s[16:19], 0 offen    // 00000000556C: E05C1000 8004C4EB
	v_mfma_scale_f32_16x16x128_f8f6f4 a[156:159], v[76:79], v[52:55], a[156:159], v204, v203 op_sel_hi:[0,0,0] cbsz:4 blgp:4// 000000005574: D3AC7800 000397CC D3AD8C9C 8672694C
	ds_read_b128 v[28:31], v217 offset:576                     // 000000005584: D9FE0240 1C0000D9
	v_mfma_scale_f32_16x16x128_f8f6f4 a[160:163], v[80:83], v[40:43], a[160:163], v205, v202 op_sel_hi:[0,0,0] cbsz:4 blgp:4// 00000000558C: D3AC6000 000395CD D3AD8CA0 86825150
	v_mfma_scale_f32_16x16x128_f8f6f4 a[164:167], v[80:83], v[44:47], a[164:167], v205, v202 op_sel_hi:[0,0,0] cbsz:4 blgp:4// 00000000559C: D3AC7000 000395CD D3AD8CA4 86925950
	ds_read_b128 v[16:19], v217 offset:4224                    // 0000000055AC: D9FE1080 100000D9
	v_mfma_scale_f32_16x16x128_f8f6f4 a[176:179], v[84:87], v[40:43], a[176:179], v205, v202 op_sel_hi:[0,0,0] cbsz:4 blgp:4// 0000000055B4: D3AC6800 000395CD D3AD8CB0 86C25154
	buffer_load_dword v210, v238, s[24:27], 0 offen            // 0000000055C4: E0501000 8006D2EE
	v_mfma_scale_f32_16x16x128_f8f6f4 a[180:183], v[84:87], v[44:47], a[180:183], v205, v202 op_sel_hi:[0,0,0] cbsz:4 blgp:4// 0000000055CC: D3AC7800 000395CD D3AD8CB4 86D25954
	ds_read_b128 v[32:35], v217 offset:4288                    // 0000000055DC: D9FE10C0 200000D9
	v_mfma_scale_f32_16x16x128_f8f6f4 a[168:171], v[80:83], v[48:51], a[168:171], v205, v203 op_sel_hi:[0,0,0] cbsz:4 blgp:4// 0000000055E4: D3AC6000 000397CD D3AD8CA8 86A26150
	v_mfma_scale_f32_16x16x128_f8f6f4 a[172:175], v[80:83], v[52:55], a[172:175], v205, v203 op_sel_hi:[0,0,0] cbsz:4 blgp:4// 0000000055F4: D3AC7000 000397CD D3AD8CAC 86B26950
	ds_read_b128 v[20:23], v217 offset:4736                    // 000000005604: D9FE1280 140000D9
	v_mfma_scale_f32_16x16x128_f8f6f4 a[184:187], v[84:87], v[48:51], a[184:187], v205, v203 op_sel_hi:[0,0,0] cbsz:4 blgp:4// 00000000560C: D3AC6800 000397CD D3AD8CB8 86E26154
	buffer_load_dword v211, v239, s[24:27], 0 offen            // 00000000561C: E0501000 8006D3EF
	v_mfma_scale_f32_16x16x128_f8f6f4 a[188:191], v[84:87], v[52:55], a[188:191], v205, v203 op_sel_hi:[0,0,0] cbsz:4 blgp:4// 000000005624: D3AC7800 000397CD D3AD8CBC 86F26954
	ds_read_b128 v[36:39], v217 offset:4800                    // 000000005634: D9FE12C0 240000D9
	v_mfma_scale_f32_16x16x128_f8f6f4 a[128:131], v[88:91], v[56:59], a[128:131], v204, v202 op_sel_hi:[0,0,0] cbsz:4 blgp:4// 00000000563C: D3AC6000 180395CC D3AD8C80 86027158
	s_add_u32 m0, 0, s67                                       // 00000000564C: 807C4380
	v_mfma_scale_f32_16x16x128_f8f6f4 a[132:135], v[88:91], v[60:63], a[132:135], v204, v202 op_sel_hi:[0,0,0] cbsz:4 blgp:4// 000000005650: D3AC7000 180395CC D3AD8C84 86127958
	ds_read_b32 v200, v219 offset:1024                         // 000000005660: D86C0400 C80000DB
	v_mfma_scale_f32_16x16x128_f8f6f4 a[144:147], v[92:95], v[56:59], a[144:147], v204, v202 op_sel_hi:[0,0,0] cbsz:4 blgp:4// 000000005668: D3AC6800 180395CC D3AD8C90 8642715C
	buffer_load_dwordx4 v212, s[12:15], 0 offen lds            // 000000005678: E05D1000 800300D4
	v_mfma_scale_f32_16x16x128_f8f6f4 a[148:151], v[92:95], v[60:63], a[148:151], v204, v202 op_sel_hi:[0,0,0] cbsz:4 blgp:4// 000000005680: D3AC7800 180395CC D3AD8C94 8652795C
	ds_read_b32 v201, v219 offset:1280                         // 000000005690: D86C0500 C90000DB
	v_mfma_scale_f32_16x16x128_f8f6f4 a[136:139], v[88:91], v[64:67], a[136:139], v204, v203 op_sel_hi:[0,0,0] cbsz:4 blgp:4// 000000005698: D3AC6000 180397CC D3AD8C88 86228158
	s_add_u32 m0, 0x1080, s67                                  // 0000000056A8: 807C43FF 00001080
	v_mfma_scale_f32_16x16x128_f8f6f4 a[140:143], v[88:91], v[68:71], a[140:143], v204, v203 op_sel_hi:[0,0,0] cbsz:4 blgp:4// 0000000056B0: D3AC7000 180397CC D3AD8C8C 86328958
	v_mfma_scale_f32_16x16x128_f8f6f4 a[152:155], v[92:95], v[64:67], a[152:155], v204, v203 op_sel_hi:[0,0,0] cbsz:4 blgp:4// 0000000056C0: D3AC6800 180397CC D3AD8C98 8662815C
	buffer_load_dwordx4 v213, s[12:15], 0 offen lds            // 0000000056D0: E05D1000 800300D5
	v_mfma_scale_f32_16x16x128_f8f6f4 a[156:159], v[92:95], v[68:71], a[156:159], v204, v203 op_sel_hi:[0,0,0] cbsz:4 blgp:4// 0000000056D8: D3AC7800 180397CC D3AD8C9C 8672895C
	v_mfma_scale_f32_16x16x128_f8f6f4 a[160:163], v[96:99], v[56:59], a[160:163], v205, v202 op_sel_hi:[0,0,0] cbsz:4 blgp:4// 0000000056E8: D3AC6000 180395CD D3AD8CA0 86827160
	s_add_u32 m0, 0, s68                                       // 0000000056F8: 807C4480
	v_mfma_scale_f32_16x16x128_f8f6f4 a[164:167], v[96:99], v[60:63], a[164:167], v205, v202 op_sel_hi:[0,0,0] cbsz:4 blgp:4// 0000000056FC: D3AC7000 180395CD D3AD8CA4 86927960
	v_mfma_scale_f32_16x16x128_f8f6f4 a[176:179], v[100:103], v[56:59], a[176:179], v205, v202 op_sel_hi:[0,0,0] cbsz:4 blgp:4// 00000000570C: D3AC6800 180395CD D3AD8CB0 86C27164
	buffer_load_dword v218, s[20:23], 0 offen lds              // 00000000571C: E0511000 800500DA
	v_mfma_scale_f32_16x16x128_f8f6f4 a[180:183], v[100:103], v[60:63], a[180:183], v205, v202 op_sel_hi:[0,0,0] cbsz:4 blgp:4// 000000005724: D3AC7800 180395CD D3AD8CB4 86D27964
	v_mfma_scale_f32_16x16x128_f8f6f4 a[168:171], v[96:99], v[64:67], a[168:171], v205, v203 op_sel_hi:[0,0,0] cbsz:4 blgp:4// 000000005734: D3AC6000 180397CD D3AD8CA8 86A28160
	v_mfma_scale_f32_16x16x128_f8f6f4 a[172:175], v[96:99], v[68:71], a[172:175], v205, v203 op_sel_hi:[0,0,0] cbsz:4 blgp:4// 000000005744: D3AC7000 180397CD D3AD8CAC 86B28960
	v_mfma_scale_f32_16x16x128_f8f6f4 a[184:187], v[100:103], v[64:67], a[184:187], v205, v203 op_sel_hi:[0,0,0] cbsz:4 blgp:4// 000000005754: D3AC6800 180397CD D3AD8CB8 86E28164
	v_mfma_scale_f32_16x16x128_f8f6f4 a[188:191], v[100:103], v[68:71], a[188:191], v205, v203 op_sel_hi:[0,0,0] cbsz:4 blgp:4// 000000005764: D3AC7800 180397CD D3AD8CBC 86F28964
	v_mfma_scale_f32_16x16x128_f8f6f4 a[192:195], v[104:107], v[40:43], a[192:195], v206, v202 op_sel_hi:[0,0,0] cbsz:4 blgp:4// 000000005774: D3AC6000 000395CE D3AD8CC0 87025168
	s_add_u32 m0, 0x2100, s67                                  // 000000005784: 807C43FF 00002100
	v_mfma_scale_f32_16x16x128_f8f6f4 a[196:199], v[104:107], v[44:47], a[196:199], v206, v202 op_sel_hi:[0,0,0] cbsz:4 blgp:4// 00000000578C: D3AC7000 000395CE D3AD8CC4 87125968
	buffer_load_dwordx4 v214, s[12:15], 0 offen lds            // 00000000579C: E05D1000 800300D6
	v_mfma_scale_f32_16x16x128_f8f6f4 a[208:211], v[108:111], v[40:43], a[208:211], v206, v202 op_sel_hi:[0,0,0] cbsz:4 blgp:4// 0000000057A4: D3AC6800 000395CE D3AD8CD0 8742516C
	v_mfma_scale_f32_16x16x128_f8f6f4 a[212:215], v[108:111], v[44:47], a[212:215], v206, v202 op_sel_hi:[0,0,0] cbsz:4 blgp:4// 0000000057B4: D3AC7800 000395CE D3AD8CD4 8752596C
	v_mfma_scale_f32_16x16x128_f8f6f4 a[200:203], v[104:107], v[48:51], a[200:203], v206, v203 op_sel_hi:[0,0,0] cbsz:4 blgp:4// 0000000057C4: D3AC6000 000397CE D3AD8CC8 87226168
	s_add_u32 m0, 0x3180, s67                                  // 0000000057D4: 807C43FF 00003180
	v_mfma_scale_f32_16x16x128_f8f6f4 a[204:207], v[104:107], v[52:55], a[204:207], v206, v203 op_sel_hi:[0,0,0] cbsz:4 blgp:4// 0000000057DC: D3AC7000 000397CE D3AD8CCC 87326968
	buffer_load_dwordx4 v215, s[12:15], 0 offen lds            // 0000000057EC: E05D1000 800300D7
	v_mfma_scale_f32_16x16x128_f8f6f4 a[216:219], v[108:111], v[48:51], a[216:219], v206, v203 op_sel_hi:[0,0,0] cbsz:4 blgp:4// 0000000057F4: D3AC6800 000397CE D3AD8CD8 8762616C
	v_mfma_scale_f32_16x16x128_f8f6f4 a[220:223], v[108:111], v[52:55], a[220:223], v206, v203 op_sel_hi:[0,0,0] cbsz:4 blgp:4// 000000005804: D3AC7800 000397CE D3AD8CDC 8772696C
	v_mfma_scale_f32_16x16x128_f8f6f4 a[224:227], v[112:115], v[40:43], a[224:227], v207, v202 op_sel_hi:[0,0,0] cbsz:4 blgp:4// 000000005814: D3AC6000 000395CF D3AD8CE0 87825170
	s_add_u32 s63, 0x200, s60                                  // 000000005824: 803F3CFF 00000200
	v_mfma_scale_f32_16x16x128_f8f6f4 a[228:231], v[112:115], v[44:47], a[228:231], v207, v202 op_sel_hi:[0,0,0] cbsz:4 blgp:4// 00000000582C: D3AC7000 000395CF D3AD8CE4 87925970
	v_mfma_scale_f32_16x16x128_f8f6f4 a[240:243], v[116:119], v[40:43], a[240:243], v207, v202 op_sel_hi:[0,0,0] cbsz:4 blgp:4// 00000000583C: D3AC6800 000395CF D3AD8CF0 87C25174
	s_cmp_lt_u32 s63, s61                                      // 00000000584C: BF0A3D3F
	v_mfma_scale_f32_16x16x128_f8f6f4 a[244:247], v[116:119], v[44:47], a[244:247], v207, v202 op_sel_hi:[0,0,0] cbsz:4 blgp:4// 000000005850: D3AC7800 000395CF D3AD8CF4 87D25974
	v_mfma_scale_f32_16x16x128_f8f6f4 a[232:235], v[112:115], v[48:51], a[232:235], v207, v203 op_sel_hi:[0,0,0] cbsz:4 blgp:4// 000000005860: D3AC6000 000397CF D3AD8CE8 87A26170
	s_cselect_b32 s70, s70, 0                                  // 000000005870: 85468046
	v_mfma_scale_f32_16x16x128_f8f6f4 a[236:239], v[112:115], v[52:55], a[236:239], v207, v203 op_sel_hi:[0,0,0] cbsz:4 blgp:4// 000000005874: D3AC7000 000397CF D3AD8CEC 87B26970
	v_mfma_scale_f32_16x16x128_f8f6f4 a[248:251], v[116:119], v[48:51], a[248:251], v207, v203 op_sel_hi:[0,0,0] cbsz:4 blgp:4// 000000005884: D3AC6800 000397CF D3AD8CF8 87E26174
	s_cselect_b32 s72, s72, 0                                  // 000000005894: 85488048
	v_mfma_scale_f32_16x16x128_f8f6f4 a[252:255], v[116:119], v[52:55], a[252:255], v207, v203 op_sel_hi:[0,0,0] cbsz:4 blgp:4// 000000005898: D3AC7800 000397CF D3AD8CFC 87F26974
	v_mfma_scale_f32_16x16x128_f8f6f4 a[192:195], v[120:123], v[56:59], a[192:195], v206, v202 op_sel_hi:[0,0,0] cbsz:4 blgp:4// 0000000058A8: D3AC6000 180395CE D3AD8CC0 87027178
	s_add_u32 s16, s16, s70                                    // 0000000058B8: 80104610
	v_mfma_scale_f32_16x16x128_f8f6f4 a[196:199], v[120:123], v[60:63], a[196:199], v206, v202 op_sel_hi:[0,0,0] cbsz:4 blgp:4// 0000000058BC: D3AC7000 180395CE D3AD8CC4 87127978
	v_mfma_scale_f32_16x16x128_f8f6f4 a[208:211], v[124:127], v[56:59], a[208:211], v206, v202 op_sel_hi:[0,0,0] cbsz:4 blgp:4// 0000000058CC: D3AC6800 180395CE D3AD8CD0 8742717C
	s_addc_u32 s17, 0, s17                                     // 0000000058DC: 82111180
	v_mfma_scale_f32_16x16x128_f8f6f4 a[212:215], v[124:127], v[60:63], a[212:215], v206, v202 op_sel_hi:[0,0,0] cbsz:4 blgp:4// 0000000058E0: D3AC7800 180395CE D3AD8CD4 8752797C
	v_mfma_scale_f32_16x16x128_f8f6f4 a[200:203], v[120:123], v[64:67], a[200:203], v206, v203 op_sel_hi:[0,0,0] cbsz:4 blgp:4// 0000000058F0: D3AC6000 180397CE D3AD8CC8 87228178
	s_sub_u32 s18, s18, s70                                    // 000000005900: 80924612
	v_mfma_scale_f32_16x16x128_f8f6f4 a[204:207], v[120:123], v[68:71], a[204:207], v206, v203 op_sel_hi:[0,0,0] cbsz:4 blgp:4// 000000005904: D3AC7000 180397CE D3AD8CCC 87328978
	v_mfma_scale_f32_16x16x128_f8f6f4 a[216:219], v[124:127], v[64:67], a[216:219], v206, v203 op_sel_hi:[0,0,0] cbsz:4 blgp:4// 000000005914: D3AC6800 180397CE D3AD8CD8 8762817C
	s_add_u32 s24, s24, s72                                    // 000000005924: 80184818
	v_mfma_scale_f32_16x16x128_f8f6f4 a[220:223], v[124:127], v[68:71], a[220:223], v206, v203 op_sel_hi:[0,0,0] cbsz:4 blgp:4// 000000005928: D3AC7800 180397CE D3AD8CDC 8772897C
	v_mfma_scale_f32_16x16x128_f8f6f4 a[224:227], v[128:131], v[56:59], a[224:227], v207, v202 op_sel_hi:[0,0,0] cbsz:4 blgp:4// 000000005938: D3AC6000 180395CF D3AD8CE0 87827180
	s_addc_u32 s25, 0, s25                                     // 000000005948: 82191980
	v_mfma_scale_f32_16x16x128_f8f6f4 a[228:231], v[128:131], v[60:63], a[228:231], v207, v202 op_sel_hi:[0,0,0] cbsz:4 blgp:4// 00000000594C: D3AC7000 180395CF D3AD8CE4 87927980
	v_mfma_scale_f32_16x16x128_f8f6f4 a[240:243], v[132:135], v[56:59], a[240:243], v207, v202 op_sel_hi:[0,0,0] cbsz:4 blgp:4// 00000000595C: D3AC6800 180395CF D3AD8CF0 87C27184
	s_sub_u32 s26, s26, s72                                    // 00000000596C: 809A481A
	v_mfma_scale_f32_16x16x128_f8f6f4 a[244:247], v[132:135], v[60:63], a[244:247], v207, v202 op_sel_hi:[0,0,0] cbsz:4 blgp:4// 000000005970: D3AC7800 180395CF D3AD8CF4 87D27984
	v_mfma_scale_f32_16x16x128_f8f6f4 a[232:235], v[128:131], v[64:67], a[232:235], v207, v203 op_sel_hi:[0,0,0] cbsz:4 blgp:4// 000000005980: D3AC6000 180397CF D3AD8CE8 87A28180
	s_addk_i32 s60, 0x100                                      // 000000005990: B73C0100
	v_mfma_scale_f32_16x16x128_f8f6f4 a[236:239], v[128:131], v[68:71], a[236:239], v207, v203 op_sel_hi:[0,0,0] cbsz:4 blgp:4// 000000005994: D3AC7000 180397CF D3AD8CEC 87B28980
	v_mfma_scale_f32_16x16x128_f8f6f4 a[248:251], v[132:135], v[64:67], a[248:251], v207, v203 op_sel_hi:[0,0,0] cbsz:4 blgp:4// 0000000059A4: D3AC6800 180397CF D3AD8CF8 87E28184
	s_cmp_lt_i32 s60, s61                                      // 0000000059B4: BF043D3C
	v_mfma_scale_f32_16x16x128_f8f6f4 a[252:255], v[132:135], v[68:71], a[252:255], v207, v203 op_sel_hi:[0,0,0] cbsz:4 blgp:4// 0000000059B8: D3AC7800 180397CF D3AD8CFC 87F28984
	s_cbranch_scc0 label_0DF7                                  // 0000000059C8: BF840283
	s_waitcnt vmcnt(15) lgkmcnt(0)                             // 0000000059CC: BF8C007F
	v_mfma_scale_f32_16x16x128_f8f6f4 a[0:3], v[136:139], v[8:11], a[0:3], v208, v200 op_sel_hi:[0,0,0] cbsz:4 blgp:4// 0000000059D0: D3AC6000 000391D0 D3AD8C00 84021188
	s_barrier                                                  // 0000000059E0: BF8A0000
	v_mfma_scale_f32_16x16x128_f8f6f4 a[4:7], v[136:139], v[12:15], a[4:7], v208, v200 op_sel_hi:[0,0,0] cbsz:4 blgp:4// 0000000059E4: D3AC7000 000391D0 D3AD8C04 84121988
	ds_read_b128 v[40:43], v217 offset:8448                    // 0000000059F4: D9FE2100 280000D9
	v_mfma_scale_f32_16x16x128_f8f6f4 a[16:19], v[140:143], v[8:11], a[16:19], v208, v200 op_sel_hi:[0,0,0] cbsz:4 blgp:4// 0000000059FC: D3AC6800 000391D0 D3AD8C10 8442118C
	buffer_load_dwordx4 v[72:75], v220, s[16:19], 0 offen      // 000000005A0C: E05C1000 800448DC
	v_mfma_scale_f32_16x16x128_f8f6f4 a[20:23], v[140:143], v[12:15], a[20:23], v208, v200 op_sel_hi:[0,0,0] cbsz:4 blgp:4// 000000005A14: D3AC7800 000391D0 D3AD8C14 8452198C
	ds_read_b128 v[56:59], v217 offset:8512                    // 000000005A24: D9FE2140 380000D9
	v_mfma_scale_f32_16x16x128_f8f6f4 a[8:11], v[136:139], v[16:19], a[8:11], v208, v201 op_sel_hi:[0,0,0] cbsz:4 blgp:4// 000000005A2C: D3AC6000 000393D0 D3AD8C08 84222188
	v_mfma_scale_f32_16x16x128_f8f6f4 a[12:15], v[136:139], v[20:23], a[12:15], v208, v201 op_sel_hi:[0,0,0] cbsz:4 blgp:4// 000000005A3C: D3AC7000 000393D0 D3AD8C0C 84322988
	ds_read_b128 v[44:47], v217 offset:8960                    // 000000005A4C: D9FE2300 2C0000D9
	v_mfma_scale_f32_16x16x128_f8f6f4 a[24:27], v[140:143], v[16:19], a[24:27], v208, v201 op_sel_hi:[0,0,0] cbsz:4 blgp:4// 000000005A54: D3AC6800 000393D0 D3AD8C18 8462218C
	buffer_load_dwordx4 v[76:79], v221, s[16:19], 0 offen      // 000000005A64: E05C1000 80044CDD
	v_mfma_scale_f32_16x16x128_f8f6f4 a[28:31], v[140:143], v[20:23], a[28:31], v208, v201 op_sel_hi:[0,0,0] cbsz:4 blgp:4// 000000005A6C: D3AC7800 000393D0 D3AD8C1C 8472298C
	ds_read_b128 v[60:63], v217 offset:9024                    // 000000005A7C: D9FE2340 3C0000D9
	v_mfma_scale_f32_16x16x128_f8f6f4 a[32:35], v[144:147], v[8:11], a[32:35], v209, v200 op_sel_hi:[0,0,0] cbsz:4 blgp:4// 000000005A84: D3AC6000 000391D1 D3AD8C20 84821190
	v_mfma_scale_f32_16x16x128_f8f6f4 a[36:39], v[144:147], v[12:15], a[36:39], v209, v200 op_sel_hi:[0,0,0] cbsz:4 blgp:4// 000000005A94: D3AC7000 000391D1 D3AD8C24 84921990
	ds_read_b128 v[48:51], v217 offset:12672                   // 000000005AA4: D9FE3180 300000D9
	v_mfma_scale_f32_16x16x128_f8f6f4 a[48:51], v[148:151], v[8:11], a[48:51], v209, v200 op_sel_hi:[0,0,0] cbsz:4 blgp:4// 000000005AAC: D3AC6800 000391D1 D3AD8C30 84C21194
	buffer_load_dwordx4 v[80:83], v222, s[16:19], 0 offen      // 000000005ABC: E05C1000 800450DE
	v_mfma_scale_f32_16x16x128_f8f6f4 a[52:55], v[148:151], v[12:15], a[52:55], v209, v200 op_sel_hi:[0,0,0] cbsz:4 blgp:4// 000000005AC4: D3AC7800 000391D1 D3AD8C34 84D21994
	ds_read_b128 v[64:67], v217 offset:12736                   // 000000005AD4: D9FE31C0 400000D9
	v_mfma_scale_f32_16x16x128_f8f6f4 a[40:43], v[144:147], v[16:19], a[40:43], v209, v201 op_sel_hi:[0,0,0] cbsz:4 blgp:4// 000000005ADC: D3AC6000 000393D1 D3AD8C28 84A22190
	v_mfma_scale_f32_16x16x128_f8f6f4 a[44:47], v[144:147], v[20:23], a[44:47], v209, v201 op_sel_hi:[0,0,0] cbsz:4 blgp:4// 000000005AEC: D3AC7000 000393D1 D3AD8C2C 84B22990
	ds_read_b128 v[52:55], v217 offset:13184                   // 000000005AFC: D9FE3380 340000D9
	v_mfma_scale_f32_16x16x128_f8f6f4 a[56:59], v[148:151], v[16:19], a[56:59], v209, v201 op_sel_hi:[0,0,0] cbsz:4 blgp:4// 000000005B04: D3AC6800 000393D1 D3AD8C38 84E22194
	buffer_load_dwordx4 v[84:87], v223, s[16:19], 0 offen      // 000000005B14: E05C1000 800454DF
	v_mfma_scale_f32_16x16x128_f8f6f4 a[60:63], v[148:151], v[20:23], a[60:63], v209, v201 op_sel_hi:[0,0,0] cbsz:4 blgp:4// 000000005B1C: D3AC7800 000393D1 D3AD8C3C 84F22994
	ds_read_b128 v[68:71], v217 offset:13248                   // 000000005B2C: D9FE33C0 440000D9
	v_mfma_scale_f32_16x16x128_f8f6f4 a[0:3], v[152:155], v[24:27], a[0:3], v208, v200 op_sel_hi:[0,0,0] cbsz:4 blgp:4// 000000005B34: D3AC6000 180391D0 D3AD8C00 84023198
	v_mfma_scale_f32_16x16x128_f8f6f4 a[4:7], v[152:155], v[28:31], a[4:7], v208, v200 op_sel_hi:[0,0,0] cbsz:4 blgp:4// 000000005B44: D3AC7000 180391D0 D3AD8C04 84123998
	ds_read_b32 v202, v219 offset:1536                         // 000000005B54: D86C0600 CA0000DB
	v_mfma_scale_f32_16x16x128_f8f6f4 a[16:19], v[156:159], v[24:27], a[16:19], v208, v200 op_sel_hi:[0,0,0] cbsz:4 blgp:4// 000000005B5C: D3AC6800 180391D0 D3AD8C10 8442319C
	buffer_load_dwordx4 v[88:91], v224, s[16:19], 0 offen      // 000000005B6C: E05C1000 800458E0
	v_mfma_scale_f32_16x16x128_f8f6f4 a[20:23], v[156:159], v[28:31], a[20:23], v208, v200 op_sel_hi:[0,0,0] cbsz:4 blgp:4// 000000005B74: D3AC7800 180391D0 D3AD8C14 8452399C
	ds_read_b32 v203, v219 offset:1792                         // 000000005B84: D86C0700 CB0000DB
	v_mfma_scale_f32_16x16x128_f8f6f4 a[8:11], v[152:155], v[32:35], a[8:11], v208, v201 op_sel_hi:[0,0,0] cbsz:4 blgp:4// 000000005B8C: D3AC6000 180393D0 D3AD8C08 84224198
	v_mfma_scale_f32_16x16x128_f8f6f4 a[12:15], v[152:155], v[36:39], a[12:15], v208, v201 op_sel_hi:[0,0,0] cbsz:4 blgp:4// 000000005B9C: D3AC7000 180393D0 D3AD8C0C 84324998
	v_mfma_scale_f32_16x16x128_f8f6f4 a[24:27], v[156:159], v[32:35], a[24:27], v208, v201 op_sel_hi:[0,0,0] cbsz:4 blgp:4// 000000005BAC: D3AC6800 180393D0 D3AD8C18 8462419C
	buffer_load_dwordx4 v[92:95], v225, s[16:19], 0 offen      // 000000005BBC: E05C1000 80045CE1
	v_mfma_scale_f32_16x16x128_f8f6f4 a[28:31], v[156:159], v[36:39], a[28:31], v208, v201 op_sel_hi:[0,0,0] cbsz:4 blgp:4// 000000005BC4: D3AC7800 180393D0 D3AD8C1C 8472499C
	v_mfma_scale_f32_16x16x128_f8f6f4 a[32:35], v[160:163], v[24:27], a[32:35], v209, v200 op_sel_hi:[0,0,0] cbsz:4 blgp:4// 000000005BD4: D3AC6000 180391D1 D3AD8C20 848231A0
	v_mfma_scale_f32_16x16x128_f8f6f4 a[36:39], v[160:163], v[28:31], a[36:39], v209, v200 op_sel_hi:[0,0,0] cbsz:4 blgp:4// 000000005BE4: D3AC7000 180391D1 D3AD8C24 849239A0
	v_mfma_scale_f32_16x16x128_f8f6f4 a[48:51], v[164:167], v[24:27], a[48:51], v209, v200 op_sel_hi:[0,0,0] cbsz:4 blgp:4// 000000005BF4: D3AC6800 180391D1 D3AD8C30 84C231A4
	buffer_load_dwordx4 v[96:99], v226, s[16:19], 0 offen      // 000000005C04: E05C1000 800460E2
	v_mfma_scale_f32_16x16x128_f8f6f4 a[52:55], v[164:167], v[28:31], a[52:55], v209, v200 op_sel_hi:[0,0,0] cbsz:4 blgp:4// 000000005C0C: D3AC7800 180391D1 D3AD8C34 84D239A4
	v_mfma_scale_f32_16x16x128_f8f6f4 a[40:43], v[160:163], v[32:35], a[40:43], v209, v201 op_sel_hi:[0,0,0] cbsz:4 blgp:4// 000000005C1C: D3AC6000 180393D1 D3AD8C28 84A241A0
	v_mfma_scale_f32_16x16x128_f8f6f4 a[44:47], v[160:163], v[36:39], a[44:47], v209, v201 op_sel_hi:[0,0,0] cbsz:4 blgp:4// 000000005C2C: D3AC7000 180393D1 D3AD8C2C 84B249A0
	v_mfma_scale_f32_16x16x128_f8f6f4 a[56:59], v[164:167], v[32:35], a[56:59], v209, v201 op_sel_hi:[0,0,0] cbsz:4 blgp:4// 000000005C3C: D3AC6800 180393D1 D3AD8C38 84E241A4
	buffer_load_dwordx4 v[100:103], v227, s[16:19], 0 offen    // 000000005C4C: E05C1000 800464E3
	v_mfma_scale_f32_16x16x128_f8f6f4 a[60:63], v[164:167], v[36:39], a[60:63], v209, v201 op_sel_hi:[0,0,0] cbsz:4 blgp:4// 000000005C54: D3AC7800 180393D1 D3AD8C3C 84F249A4
	s_waitcnt vmcnt(13)                                        // 000000005C64: BF8C0F7D
	v_mfma_scale_f32_16x16x128_f8f6f4 a[64:67], v[168:171], v[8:11], a[64:67], v210, v200 op_sel_hi:[0,0,0] cbsz:4 blgp:4// 000000005C68: D3AC6000 000391D2 D3AD8C40 850211A8
	s_add_u32 s62, 0x200, s60                                  // 000000005C78: 803E3CFF 00000200
	v_mfma_scale_f32_16x16x128_f8f6f4 a[68:71], v[168:171], v[12:15], a[68:71], v210, v200 op_sel_hi:[0,0,0] cbsz:4 blgp:4// 000000005C80: D3AC7000 000391D2 D3AD8C44 851219A8
	v_mfma_scale_f32_16x16x128_f8f6f4 a[80:83], v[172:175], v[8:11], a[80:83], v210, v200 op_sel_hi:[0,0,0] cbsz:4 blgp:4// 000000005C90: D3AC6800 000391D2 D3AD8C50 854211AC
	s_cmp_lt_u32 s62, s61                                      // 000000005CA0: BF0A3D3E
	v_mfma_scale_f32_16x16x128_f8f6f4 a[84:87], v[172:175], v[12:15], a[84:87], v210, v200 op_sel_hi:[0,0,0] cbsz:4 blgp:4// 000000005CA4: D3AC7800 000391D2 D3AD8C54 855219AC
	buffer_load_dword v204, v236, s[24:27], 0 offen            // 000000005CB4: E0501000 8006CCEC
	v_mfma_scale_f32_16x16x128_f8f6f4 a[72:75], v[168:171], v[16:19], a[72:75], v210, v201 op_sel_hi:[0,0,0] cbsz:4 blgp:4// 000000005CBC: D3AC6000 000393D2 D3AD8C48 852221A8
	s_cselect_b32 s69, s69, 0                                  // 000000005CCC: 85458045
	v_mfma_scale_f32_16x16x128_f8f6f4 a[76:79], v[168:171], v[20:23], a[76:79], v210, v201 op_sel_hi:[0,0,0] cbsz:4 blgp:4// 000000005CD0: D3AC7000 000393D2 D3AD8C4C 853229A8
	v_mfma_scale_f32_16x16x128_f8f6f4 a[88:91], v[172:175], v[16:19], a[88:91], v210, v201 op_sel_hi:[0,0,0] cbsz:4 blgp:4// 000000005CE0: D3AC6800 000393D2 D3AD8C58 856221AC
	s_cselect_b32 s71, s71, 0                                  // 000000005CF0: 85478047
	v_mfma_scale_f32_16x16x128_f8f6f4 a[92:95], v[172:175], v[20:23], a[92:95], v210, v201 op_sel_hi:[0,0,0] cbsz:4 blgp:4// 000000005CF4: D3AC7800 000393D2 D3AD8C5C 857229AC
	buffer_load_dword v205, v237, s[24:27], 0 offen            // 000000005D04: E0501000 8006CDED
	v_mfma_scale_f32_16x16x128_f8f6f4 a[96:99], v[176:179], v[8:11], a[96:99], v211, v200 op_sel_hi:[0,0,0] cbsz:4 blgp:4// 000000005D0C: D3AC6000 000391D3 D3AD8C60 858211B0
	s_add_u32 s12, s12, s69                                    // 000000005D1C: 800C450C
	v_mfma_scale_f32_16x16x128_f8f6f4 a[100:103], v[176:179], v[12:15], a[100:103], v211, v200 op_sel_hi:[0,0,0] cbsz:4 blgp:4// 000000005D20: D3AC7000 000391D3 D3AD8C64 859219B0
	v_mfma_scale_f32_16x16x128_f8f6f4 a[112:115], v[180:183], v[8:11], a[112:115], v211, v200 op_sel_hi:[0,0,0] cbsz:4 blgp:4// 000000005D30: D3AC6800 000391D3 D3AD8C70 85C211B4
	s_addc_u32 s13, 0, s13                                     // 000000005D40: 820D0D80
	v_mfma_scale_f32_16x16x128_f8f6f4 a[116:119], v[180:183], v[12:15], a[116:119], v211, v200 op_sel_hi:[0,0,0] cbsz:4 blgp:4// 000000005D44: D3AC7800 000391D3 D3AD8C74 85D219B4
	buffer_load_dwordx4 v[104:107], v228, s[16:19], 0 offen    // 000000005D54: E05C1000 800468E4
	v_mfma_scale_f32_16x16x128_f8f6f4 a[104:107], v[176:179], v[16:19], a[104:107], v211, v201 op_sel_hi:[0,0,0] cbsz:4 blgp:4// 000000005D5C: D3AC6000 000393D3 D3AD8C68 85A221B0
	s_sub_u32 s14, s14, s69                                    // 000000005D6C: 808E450E
	v_mfma_scale_f32_16x16x128_f8f6f4 a[108:111], v[176:179], v[20:23], a[108:111], v211, v201 op_sel_hi:[0,0,0] cbsz:4 blgp:4// 000000005D70: D3AC7000 000393D3 D3AD8C6C 85B229B0
	v_mfma_scale_f32_16x16x128_f8f6f4 a[120:123], v[180:183], v[16:19], a[120:123], v211, v201 op_sel_hi:[0,0,0] cbsz:4 blgp:4// 000000005D80: D3AC6800 000393D3 D3AD8C78 85E221B4
	s_add_u32 s20, s20, s71                                    // 000000005D90: 80144714
	v_mfma_scale_f32_16x16x128_f8f6f4 a[124:127], v[180:183], v[20:23], a[124:127], v211, v201 op_sel_hi:[0,0,0] cbsz:4 blgp:4// 000000005D94: D3AC7800 000393D3 D3AD8C7C 85F229B4
	buffer_load_dwordx4 v[108:111], v229, s[16:19], 0 offen    // 000000005DA4: E05C1000 80046CE5
	v_mfma_scale_f32_16x16x128_f8f6f4 a[64:67], v[184:187], v[24:27], a[64:67], v210, v200 op_sel_hi:[0,0,0] cbsz:4 blgp:4// 000000005DAC: D3AC6000 180391D2 D3AD8C40 850231B8
	s_addc_u32 s21, 0, s21                                     // 000000005DBC: 82151580
	v_mfma_scale_f32_16x16x128_f8f6f4 a[68:71], v[184:187], v[28:31], a[68:71], v210, v200 op_sel_hi:[0,0,0] cbsz:4 blgp:4// 000000005DC0: D3AC7000 180391D2 D3AD8C44 851239B8
	v_mfma_scale_f32_16x16x128_f8f6f4 a[80:83], v[188:191], v[24:27], a[80:83], v210, v200 op_sel_hi:[0,0,0] cbsz:4 blgp:4// 000000005DD0: D3AC6800 180391D2 D3AD8C50 854231BC
	s_sub_u32 s22, s22, s71                                    // 000000005DE0: 80964716
	v_mfma_scale_f32_16x16x128_f8f6f4 a[84:87], v[188:191], v[28:31], a[84:87], v210, v200 op_sel_hi:[0,0,0] cbsz:4 blgp:4// 000000005DE4: D3AC7800 180391D2 D3AD8C54 855239BC
	buffer_load_dwordx4 v[112:115], v230, s[16:19], 0 offen    // 000000005DF4: E05C1000 800470E6
	v_mfma_scale_f32_16x16x128_f8f6f4 a[72:75], v[184:187], v[32:35], a[72:75], v210, v201 op_sel_hi:[0,0,0] cbsz:4 blgp:4// 000000005DFC: D3AC6000 180393D2 D3AD8C48 852241B8
	v_mfma_scale_f32_16x16x128_f8f6f4 a[76:79], v[184:187], v[36:39], a[76:79], v210, v201 op_sel_hi:[0,0,0] cbsz:4 blgp:4// 000000005E0C: D3AC7000 180393D2 D3AD8C4C 853249B8
	v_mfma_scale_f32_16x16x128_f8f6f4 a[88:91], v[188:191], v[32:35], a[88:91], v210, v201 op_sel_hi:[0,0,0] cbsz:4 blgp:4// 000000005E1C: D3AC6800 180393D2 D3AD8C58 856241BC
	v_mfma_scale_f32_16x16x128_f8f6f4 a[92:95], v[188:191], v[36:39], a[92:95], v210, v201 op_sel_hi:[0,0,0] cbsz:4 blgp:4// 000000005E2C: D3AC7800 180393D2 D3AD8C5C 857249BC
	buffer_load_dwordx4 v[116:119], v231, s[16:19], 0 offen    // 000000005E3C: E05C1000 800474E7
	v_mfma_scale_f32_16x16x128_f8f6f4 a[96:99], v[192:195], v[24:27], a[96:99], v211, v200 op_sel_hi:[0,0,0] cbsz:4 blgp:4// 000000005E44: D3AC6000 180391D3 D3AD8C60 858231C0
	v_mfma_scale_f32_16x16x128_f8f6f4 a[100:103], v[192:195], v[28:31], a[100:103], v211, v200 op_sel_hi:[0,0,0] cbsz:4 blgp:4// 000000005E54: D3AC7000 180391D3 D3AD8C64 859239C0
	v_mfma_scale_f32_16x16x128_f8f6f4 a[112:115], v[196:199], v[24:27], a[112:115], v211, v200 op_sel_hi:[0,0,0] cbsz:4 blgp:4// 000000005E64: D3AC6800 180391D3 D3AD8C70 85C231C4
	v_mfma_scale_f32_16x16x128_f8f6f4 a[116:119], v[196:199], v[28:31], a[116:119], v211, v200 op_sel_hi:[0,0,0] cbsz:4 blgp:4// 000000005E74: D3AC7800 180391D3 D3AD8C74 85D239C4
	buffer_load_dwordx4 v[120:123], v232, s[16:19], 0 offen    // 000000005E84: E05C1000 800478E8
	v_mfma_scale_f32_16x16x128_f8f6f4 a[104:107], v[192:195], v[32:35], a[104:107], v211, v201 op_sel_hi:[0,0,0] cbsz:4 blgp:4// 000000005E8C: D3AC6000 180393D3 D3AD8C68 85A241C0
	v_mfma_scale_f32_16x16x128_f8f6f4 a[108:111], v[192:195], v[36:39], a[108:111], v211, v201 op_sel_hi:[0,0,0] cbsz:4 blgp:4// 000000005E9C: D3AC7000 180393D3 D3AD8C6C 85B249C0
	v_mfma_scale_f32_16x16x128_f8f6f4 a[120:123], v[196:199], v[32:35], a[120:123], v211, v201 op_sel_hi:[0,0,0] cbsz:4 blgp:4// 000000005EAC: D3AC6800 180393D3 D3AD8C78 85E241C4
	v_mfma_scale_f32_16x16x128_f8f6f4 a[124:127], v[196:199], v[36:39], a[124:127], v211, v201 op_sel_hi:[0,0,0] cbsz:4 blgp:4// 000000005EBC: D3AC7800 180393D3 D3AD8C7C 85F249C4
	buffer_load_dwordx4 v[124:127], v233, s[16:19], 0 offen    // 000000005ECC: E05C1000 80047CE9
	s_waitcnt vmcnt(18) lgkmcnt(0)                             // 000000005ED4: BF8C4072
	v_mfma_scale_f32_16x16x128_f8f6f4 a[128:131], v[136:139], v[40:43], a[128:131], v208, v202 op_sel_hi:[0,0,0] cbsz:4 blgp:4// 000000005ED8: D3AC6000 000395D0 D3AD8C80 86025188
	s_barrier                                                  // 000000005EE8: BF8A0000
	v_mfma_scale_f32_16x16x128_f8f6f4 a[132:135], v[136:139], v[44:47], a[132:135], v208, v202 op_sel_hi:[0,0,0] cbsz:4 blgp:4// 000000005EEC: D3AC7000 000395D0 D3AD8C84 86125988
	ds_read_b128 v[8:11], v216                                 // 000000005EFC: D9FE0000 080000D8
	v_mfma_scale_f32_16x16x128_f8f6f4 a[144:147], v[140:143], v[40:43], a[144:147], v208, v202 op_sel_hi:[0,0,0] cbsz:4 blgp:4// 000000005F04: D3AC6800 000395D0 D3AD8C90 8642518C
	buffer_load_dwordx4 v[128:131], v234, s[16:19], 0 offen    // 000000005F14: E05C1000 800480EA
	v_mfma_scale_f32_16x16x128_f8f6f4 a[148:151], v[140:143], v[44:47], a[148:151], v208, v202 op_sel_hi:[0,0,0] cbsz:4 blgp:4// 000000005F1C: D3AC7800 000395D0 D3AD8C94 8652598C
	ds_read_b128 v[24:27], v216 offset:64                      // 000000005F2C: D9FE0040 180000D8
	v_mfma_scale_f32_16x16x128_f8f6f4 a[136:139], v[136:139], v[48:51], a[136:139], v208, v203 op_sel_hi:[0,0,0] cbsz:4 blgp:4// 000000005F34: D3AC6000 000397D0 D3AD8C88 86226188
	v_mfma_scale_f32_16x16x128_f8f6f4 a[140:143], v[136:139], v[52:55], a[140:143], v208, v203 op_sel_hi:[0,0,0] cbsz:4 blgp:4// 000000005F44: D3AC7000 000397D0 D3AD8C8C 86326988
	ds_read_b128 v[12:15], v216 offset:512                     // 000000005F54: D9FE0200 0C0000D8
	v_mfma_scale_f32_16x16x128_f8f6f4 a[152:155], v[140:143], v[48:51], a[152:155], v208, v203 op_sel_hi:[0,0,0] cbsz:4 blgp:4// 000000005F5C: D3AC6800 000397D0 D3AD8C98 8662618C
	buffer_load_dwordx4 v[132:135], v235, s[16:19], 0 offen    // 000000005F6C: E05C1000 800484EB
	v_mfma_scale_f32_16x16x128_f8f6f4 a[156:159], v[140:143], v[52:55], a[156:159], v208, v203 op_sel_hi:[0,0,0] cbsz:4 blgp:4// 000000005F74: D3AC7800 000397D0 D3AD8C9C 8672698C
	ds_read_b128 v[28:31], v216 offset:576                     // 000000005F84: D9FE0240 1C0000D8
	v_mfma_scale_f32_16x16x128_f8f6f4 a[160:163], v[144:147], v[40:43], a[160:163], v209, v202 op_sel_hi:[0,0,0] cbsz:4 blgp:4// 000000005F8C: D3AC6000 000395D1 D3AD8CA0 86825190
	v_mfma_scale_f32_16x16x128_f8f6f4 a[164:167], v[144:147], v[44:47], a[164:167], v209, v202 op_sel_hi:[0,0,0] cbsz:4 blgp:4// 000000005F9C: D3AC7000 000395D1 D3AD8CA4 86925990
	ds_read_b128 v[16:19], v216 offset:4224                    // 000000005FAC: D9FE1080 100000D8
	v_mfma_scale_f32_16x16x128_f8f6f4 a[176:179], v[148:151], v[40:43], a[176:179], v209, v202 op_sel_hi:[0,0,0] cbsz:4 blgp:4// 000000005FB4: D3AC6800 000395D1 D3AD8CB0 86C25194
	buffer_load_dword v206, v238, s[24:27], 0 offen            // 000000005FC4: E0501000 8006CEEE
	v_mfma_scale_f32_16x16x128_f8f6f4 a[180:183], v[148:151], v[44:47], a[180:183], v209, v202 op_sel_hi:[0,0,0] cbsz:4 blgp:4// 000000005FCC: D3AC7800 000395D1 D3AD8CB4 86D25994
	ds_read_b128 v[32:35], v216 offset:4288                    // 000000005FDC: D9FE10C0 200000D8
	v_mfma_scale_f32_16x16x128_f8f6f4 a[168:171], v[144:147], v[48:51], a[168:171], v209, v203 op_sel_hi:[0,0,0] cbsz:4 blgp:4// 000000005FE4: D3AC6000 000397D1 D3AD8CA8 86A26190
	v_mfma_scale_f32_16x16x128_f8f6f4 a[172:175], v[144:147], v[52:55], a[172:175], v209, v203 op_sel_hi:[0,0,0] cbsz:4 blgp:4// 000000005FF4: D3AC7000 000397D1 D3AD8CAC 86B26990
	ds_read_b128 v[20:23], v216 offset:4736                    // 000000006004: D9FE1280 140000D8
	v_mfma_scale_f32_16x16x128_f8f6f4 a[184:187], v[148:151], v[48:51], a[184:187], v209, v203 op_sel_hi:[0,0,0] cbsz:4 blgp:4// 00000000600C: D3AC6800 000397D1 D3AD8CB8 86E26194
	buffer_load_dword v207, v239, s[24:27], 0 offen            // 00000000601C: E0501000 8006CFEF
	v_mfma_scale_f32_16x16x128_f8f6f4 a[188:191], v[148:151], v[52:55], a[188:191], v209, v203 op_sel_hi:[0,0,0] cbsz:4 blgp:4// 000000006024: D3AC7800 000397D1 D3AD8CBC 86F26994
	ds_read_b128 v[36:39], v216 offset:4800                    // 000000006034: D9FE12C0 240000D8
	v_mfma_scale_f32_16x16x128_f8f6f4 a[128:131], v[152:155], v[56:59], a[128:131], v208, v202 op_sel_hi:[0,0,0] cbsz:4 blgp:4// 00000000603C: D3AC6000 180395D0 D3AD8C80 86027198
	s_add_u32 m0, 0x4200, s67                                  // 00000000604C: 807C43FF 00004200
	v_mfma_scale_f32_16x16x128_f8f6f4 a[132:135], v[152:155], v[60:63], a[132:135], v208, v202 op_sel_hi:[0,0,0] cbsz:4 blgp:4// 000000006054: D3AC7000 180395D0 D3AD8C84 86127998
	ds_read_b32 v200, v219                                     // 000000006064: D86C0000 C80000DB
	v_mfma_scale_f32_16x16x128_f8f6f4 a[144:147], v[156:159], v[56:59], a[144:147], v208, v202 op_sel_hi:[0,0,0] cbsz:4 blgp:4// 00000000606C: D3AC6800 180395D0 D3AD8C90 8642719C
	buffer_load_dwordx4 v212, s[12:15], 0 offen lds            // 00000000607C: E05D1000 800300D4
	v_mfma_scale_f32_16x16x128_f8f6f4 a[148:151], v[156:159], v[60:63], a[148:151], v208, v202 op_sel_hi:[0,0,0] cbsz:4 blgp:4// 000000006084: D3AC7800 180395D0 D3AD8C94 8652799C
	ds_read_b32 v201, v219 offset:256                          // 000000006094: D86C0100 C90000DB
	v_mfma_scale_f32_16x16x128_f8f6f4 a[136:139], v[152:155], v[64:67], a[136:139], v208, v203 op_sel_hi:[0,0,0] cbsz:4 blgp:4// 00000000609C: D3AC6000 180397D0 D3AD8C88 86228198
	s_add_u32 m0, 0x5280, s67                                  // 0000000060AC: 807C43FF 00005280
	v_mfma_scale_f32_16x16x128_f8f6f4 a[140:143], v[152:155], v[68:71], a[140:143], v208, v203 op_sel_hi:[0,0,0] cbsz:4 blgp:4// 0000000060B4: D3AC7000 180397D0 D3AD8C8C 86328998
	v_mfma_scale_f32_16x16x128_f8f6f4 a[152:155], v[156:159], v[64:67], a[152:155], v208, v203 op_sel_hi:[0,0,0] cbsz:4 blgp:4// 0000000060C4: D3AC6800 180397D0 D3AD8C98 8662819C
	buffer_load_dwordx4 v213, s[12:15], 0 offen lds            // 0000000060D4: E05D1000 800300D5
	v_mfma_scale_f32_16x16x128_f8f6f4 a[156:159], v[156:159], v[68:71], a[156:159], v208, v203 op_sel_hi:[0,0,0] cbsz:4 blgp:4// 0000000060DC: D3AC7800 180397D0 D3AD8C9C 8672899C
	v_mfma_scale_f32_16x16x128_f8f6f4 a[160:163], v[160:163], v[56:59], a[160:163], v209, v202 op_sel_hi:[0,0,0] cbsz:4 blgp:4// 0000000060EC: D3AC6000 180395D1 D3AD8CA0 868271A0
	s_add_u32 m0, 0x400, s68                                   // 0000000060FC: 807C44FF 00000400
	v_mfma_scale_f32_16x16x128_f8f6f4 a[164:167], v[160:163], v[60:63], a[164:167], v209, v202 op_sel_hi:[0,0,0] cbsz:4 blgp:4// 000000006104: D3AC7000 180395D1 D3AD8CA4 869279A0
	v_mfma_scale_f32_16x16x128_f8f6f4 a[176:179], v[164:167], v[56:59], a[176:179], v209, v202 op_sel_hi:[0,0,0] cbsz:4 blgp:4// 000000006114: D3AC6800 180395D1 D3AD8CB0 86C271A4
	buffer_load_dword v218, s[20:23], 0 offen lds              // 000000006124: E0511000 800500DA
	v_mfma_scale_f32_16x16x128_f8f6f4 a[180:183], v[164:167], v[60:63], a[180:183], v209, v202 op_sel_hi:[0,0,0] cbsz:4 blgp:4// 00000000612C: D3AC7800 180395D1 D3AD8CB4 86D279A4
	v_mfma_scale_f32_16x16x128_f8f6f4 a[168:171], v[160:163], v[64:67], a[168:171], v209, v203 op_sel_hi:[0,0,0] cbsz:4 blgp:4// 00000000613C: D3AC6000 180397D1 D3AD8CA8 86A281A0
	v_mfma_scale_f32_16x16x128_f8f6f4 a[172:175], v[160:163], v[68:71], a[172:175], v209, v203 op_sel_hi:[0,0,0] cbsz:4 blgp:4// 00000000614C: D3AC7000 180397D1 D3AD8CAC 86B289A0
	v_mfma_scale_f32_16x16x128_f8f6f4 a[184:187], v[164:167], v[64:67], a[184:187], v209, v203 op_sel_hi:[0,0,0] cbsz:4 blgp:4// 00000000615C: D3AC6800 180397D1 D3AD8CB8 86E281A4
	v_mfma_scale_f32_16x16x128_f8f6f4 a[188:191], v[164:167], v[68:71], a[188:191], v209, v203 op_sel_hi:[0,0,0] cbsz:4 blgp:4// 00000000616C: D3AC7800 180397D1 D3AD8CBC 86F289A4
	v_mfma_scale_f32_16x16x128_f8f6f4 a[192:195], v[168:171], v[40:43], a[192:195], v210, v202 op_sel_hi:[0,0,0] cbsz:4 blgp:4// 00000000617C: D3AC6000 000395D2 D3AD8CC0 870251A8
	s_add_u32 m0, 0x6300, s67                                  // 00000000618C: 807C43FF 00006300
	v_mfma_scale_f32_16x16x128_f8f6f4 a[196:199], v[168:171], v[44:47], a[196:199], v210, v202 op_sel_hi:[0,0,0] cbsz:4 blgp:4// 000000006194: D3AC7000 000395D2 D3AD8CC4 871259A8
	buffer_load_dwordx4 v214, s[12:15], 0 offen lds            // 0000000061A4: E05D1000 800300D6
	v_mfma_scale_f32_16x16x128_f8f6f4 a[208:211], v[172:175], v[40:43], a[208:211], v210, v202 op_sel_hi:[0,0,0] cbsz:4 blgp:4// 0000000061AC: D3AC6800 000395D2 D3AD8CD0 874251AC
	v_mfma_scale_f32_16x16x128_f8f6f4 a[212:215], v[172:175], v[44:47], a[212:215], v210, v202 op_sel_hi:[0,0,0] cbsz:4 blgp:4// 0000000061BC: D3AC7800 000395D2 D3AD8CD4 875259AC
	v_mfma_scale_f32_16x16x128_f8f6f4 a[200:203], v[168:171], v[48:51], a[200:203], v210, v203 op_sel_hi:[0,0,0] cbsz:4 blgp:4// 0000000061CC: D3AC6000 000397D2 D3AD8CC8 872261A8
	s_add_u32 m0, 0x7380, s67                                  // 0000000061DC: 807C43FF 00007380
	v_mfma_scale_f32_16x16x128_f8f6f4 a[204:207], v[168:171], v[52:55], a[204:207], v210, v203 op_sel_hi:[0,0,0] cbsz:4 blgp:4// 0000000061E4: D3AC7000 000397D2 D3AD8CCC 873269A8
	buffer_load_dwordx4 v215, s[12:15], 0 offen lds            // 0000000061F4: E05D1000 800300D7
	v_mfma_scale_f32_16x16x128_f8f6f4 a[216:219], v[172:175], v[48:51], a[216:219], v210, v203 op_sel_hi:[0,0,0] cbsz:4 blgp:4// 0000000061FC: D3AC6800 000397D2 D3AD8CD8 876261AC
	v_mfma_scale_f32_16x16x128_f8f6f4 a[220:223], v[172:175], v[52:55], a[220:223], v210, v203 op_sel_hi:[0,0,0] cbsz:4 blgp:4// 00000000620C: D3AC7800 000397D2 D3AD8CDC 877269AC
	v_mfma_scale_f32_16x16x128_f8f6f4 a[224:227], v[176:179], v[40:43], a[224:227], v211, v202 op_sel_hi:[0,0,0] cbsz:4 blgp:4// 00000000621C: D3AC6000 000395D3 D3AD8CE0 878251B0
	s_add_u32 s63, 0x200, s60                                  // 00000000622C: 803F3CFF 00000200
	v_mfma_scale_f32_16x16x128_f8f6f4 a[228:231], v[176:179], v[44:47], a[228:231], v211, v202 op_sel_hi:[0,0,0] cbsz:4 blgp:4// 000000006234: D3AC7000 000395D3 D3AD8CE4 879259B0
	v_mfma_scale_f32_16x16x128_f8f6f4 a[240:243], v[180:183], v[40:43], a[240:243], v211, v202 op_sel_hi:[0,0,0] cbsz:4 blgp:4// 000000006244: D3AC6800 000395D3 D3AD8CF0 87C251B4
	s_cmp_lt_u32 s63, s61                                      // 000000006254: BF0A3D3F
	v_mfma_scale_f32_16x16x128_f8f6f4 a[244:247], v[180:183], v[44:47], a[244:247], v211, v202 op_sel_hi:[0,0,0] cbsz:4 blgp:4// 000000006258: D3AC7800 000395D3 D3AD8CF4 87D259B4
	v_mfma_scale_f32_16x16x128_f8f6f4 a[232:235], v[176:179], v[48:51], a[232:235], v211, v203 op_sel_hi:[0,0,0] cbsz:4 blgp:4// 000000006268: D3AC6000 000397D3 D3AD8CE8 87A261B0
	s_cselect_b32 s70, s70, 0                                  // 000000006278: 85468046
	v_mfma_scale_f32_16x16x128_f8f6f4 a[236:239], v[176:179], v[52:55], a[236:239], v211, v203 op_sel_hi:[0,0,0] cbsz:4 blgp:4// 00000000627C: D3AC7000 000397D3 D3AD8CEC 87B269B0
	v_mfma_scale_f32_16x16x128_f8f6f4 a[248:251], v[180:183], v[48:51], a[248:251], v211, v203 op_sel_hi:[0,0,0] cbsz:4 blgp:4// 00000000628C: D3AC6800 000397D3 D3AD8CF8 87E261B4
	s_cselect_b32 s72, s72, 0                                  // 00000000629C: 85488048
	v_mfma_scale_f32_16x16x128_f8f6f4 a[252:255], v[180:183], v[52:55], a[252:255], v211, v203 op_sel_hi:[0,0,0] cbsz:4 blgp:4// 0000000062A0: D3AC7800 000397D3 D3AD8CFC 87F269B4
	v_mfma_scale_f32_16x16x128_f8f6f4 a[192:195], v[184:187], v[56:59], a[192:195], v210, v202 op_sel_hi:[0,0,0] cbsz:4 blgp:4// 0000000062B0: D3AC6000 180395D2 D3AD8CC0 870271B8
	s_add_u32 s16, s16, s70                                    // 0000000062C0: 80104610
	v_mfma_scale_f32_16x16x128_f8f6f4 a[196:199], v[184:187], v[60:63], a[196:199], v210, v202 op_sel_hi:[0,0,0] cbsz:4 blgp:4// 0000000062C4: D3AC7000 180395D2 D3AD8CC4 871279B8
	v_mfma_scale_f32_16x16x128_f8f6f4 a[208:211], v[188:191], v[56:59], a[208:211], v210, v202 op_sel_hi:[0,0,0] cbsz:4 blgp:4// 0000000062D4: D3AC6800 180395D2 D3AD8CD0 874271BC
	s_addc_u32 s17, 0, s17                                     // 0000000062E4: 82111180
	v_mfma_scale_f32_16x16x128_f8f6f4 a[212:215], v[188:191], v[60:63], a[212:215], v210, v202 op_sel_hi:[0,0,0] cbsz:4 blgp:4// 0000000062E8: D3AC7800 180395D2 D3AD8CD4 875279BC
	v_mfma_scale_f32_16x16x128_f8f6f4 a[200:203], v[184:187], v[64:67], a[200:203], v210, v203 op_sel_hi:[0,0,0] cbsz:4 blgp:4// 0000000062F8: D3AC6000 180397D2 D3AD8CC8 872281B8
	s_sub_u32 s18, s18, s70                                    // 000000006308: 80924612
	v_mfma_scale_f32_16x16x128_f8f6f4 a[204:207], v[184:187], v[68:71], a[204:207], v210, v203 op_sel_hi:[0,0,0] cbsz:4 blgp:4// 00000000630C: D3AC7000 180397D2 D3AD8CCC 873289B8
	v_mfma_scale_f32_16x16x128_f8f6f4 a[216:219], v[188:191], v[64:67], a[216:219], v210, v203 op_sel_hi:[0,0,0] cbsz:4 blgp:4// 00000000631C: D3AC6800 180397D2 D3AD8CD8 876281BC
	s_add_u32 s24, s24, s72                                    // 00000000632C: 80184818
	v_mfma_scale_f32_16x16x128_f8f6f4 a[220:223], v[188:191], v[68:71], a[220:223], v210, v203 op_sel_hi:[0,0,0] cbsz:4 blgp:4// 000000006330: D3AC7800 180397D2 D3AD8CDC 877289BC
	v_mfma_scale_f32_16x16x128_f8f6f4 a[224:227], v[192:195], v[56:59], a[224:227], v211, v202 op_sel_hi:[0,0,0] cbsz:4 blgp:4// 000000006340: D3AC6000 180395D3 D3AD8CE0 878271C0
	s_addc_u32 s25, 0, s25                                     // 000000006350: 82191980
	v_mfma_scale_f32_16x16x128_f8f6f4 a[228:231], v[192:195], v[60:63], a[228:231], v211, v202 op_sel_hi:[0,0,0] cbsz:4 blgp:4// 000000006354: D3AC7000 180395D3 D3AD8CE4 879279C0
	v_mfma_scale_f32_16x16x128_f8f6f4 a[240:243], v[196:199], v[56:59], a[240:243], v211, v202 op_sel_hi:[0,0,0] cbsz:4 blgp:4// 000000006364: D3AC6800 180395D3 D3AD8CF0 87C271C4
	s_sub_u32 s26, s26, s72                                    // 000000006374: 809A481A
	v_mfma_scale_f32_16x16x128_f8f6f4 a[244:247], v[196:199], v[60:63], a[244:247], v211, v202 op_sel_hi:[0,0,0] cbsz:4 blgp:4// 000000006378: D3AC7800 180395D3 D3AD8CF4 87D279C4
	v_mfma_scale_f32_16x16x128_f8f6f4 a[232:235], v[192:195], v[64:67], a[232:235], v211, v203 op_sel_hi:[0,0,0] cbsz:4 blgp:4// 000000006388: D3AC6000 180397D3 D3AD8CE8 87A281C0
	s_addk_i32 s60, 0x100                                      // 000000006398: B73C0100
	v_mfma_scale_f32_16x16x128_f8f6f4 a[236:239], v[192:195], v[68:71], a[236:239], v211, v203 op_sel_hi:[0,0,0] cbsz:4 blgp:4// 00000000639C: D3AC7000 180397D3 D3AD8CEC 87B289C0
	v_mfma_scale_f32_16x16x128_f8f6f4 a[248:251], v[196:199], v[64:67], a[248:251], v211, v203 op_sel_hi:[0,0,0] cbsz:4 blgp:4// 0000000063AC: D3AC6800 180397D3 D3AD8CF8 87E281C4
	s_cmp_lt_i32 s60, s61                                      // 0000000063BC: BF043D3C
	v_mfma_scale_f32_16x16x128_f8f6f4 a[252:255], v[196:199], v[68:71], a[252:255], v211, v203 op_sel_hi:[0,0,0] cbsz:4 blgp:4// 0000000063C0: D3AC7800 180397D3 D3AD8CFC 87F289C4
	s_cbranch_scc0 label_0DF7                                  // 0000000063D0: BF840001
	s_branch label_08F4                                        // 0000000063D4: BF82FAFD

00000000000063d8 <label_0DF7>:
	s_waitcnt vmcnt(0) expcnt(0) lgkmcnt(0)                    // 0000000063D8: BF8C0000
	s_barrier                                                  // 0000000063DC: BF8A0000
	s_cmp_eq_u32 s65, 0                                        // 0000000063E0: BF068041
	s_cbranch_scc1 label_1660                                  // 0000000063E4: BF850865
	v_lshrrev_b32_e32 v4, 4, v0                                // 0000000063E8: 20080084
	v_mul_i32_i24_e64 v4, v4, 8                                // 0000000063EC: D1060004 00011104
	v_and_b32_e64 v5, v0, 15                                   // 0000000063F4: D1130005 00011F00
	v_lshlrev_b32_e32 v5, 8, v5                                // 0000000063FC: 240A0A88
	v_add_i32 v4, v4, v5                                       // 000000006400: D29C0004 00020B04
	s_mul_i32 s62, s46, 0x4000                                 // 000000006408: 923EFF2E 00004000
	s_add_i32 s62, s62, 0                                      // 000000006410: 813E803E
	v_add_i32 v4, v4, s62                                      // 000000006414: D29C0004 00007D04
	v_accvgpr_read_b32 v8, a0                                  // 00000000641C: D3D84008 18000100
	v_mul_f32_e32 v8, s41, v8                                  // 000000006424: 0A101029
	v_accvgpr_read_b32 v9, a1                                  // 000000006428: D3D84009 18000101
	v_mul_f32_e32 v9, s41, v9                                  // 000000006430: 0A121229
	v_accvgpr_read_b32 v10, a2                                 // 000000006434: D3D8400A 18000102
	v_mul_f32_e32 v10, s41, v10                                // 00000000643C: 0A141429
	v_accvgpr_read_b32 v11, a3                                 // 000000006440: D3D8400B 18000103
	v_mul_f32_e32 v11, s41, v11                                // 000000006448: 0A161629
	v_accvgpr_read_b32 v12, a16                                // 00000000644C: D3D8400C 18000110
	v_mul_f32_e32 v12, s41, v12                                // 000000006454: 0A181829
	v_accvgpr_read_b32 v13, a17                                // 000000006458: D3D8400D 18000111
	v_mul_f32_e32 v13, s41, v13                                // 000000006460: 0A1A1A29
	v_accvgpr_read_b32 v14, a18                                // 000000006464: D3D8400E 18000112
	v_mul_f32_e32 v14, s41, v14                                // 00000000646C: 0A1C1C29
	v_accvgpr_read_b32 v15, a19                                // 000000006470: D3D8400F 18000113
	v_mul_f32_e32 v15, s41, v15                                // 000000006478: 0A1E1E29
	v_cvt_pk_bf16_f32 v16, v8, v9                              // 00000000647C: D2680010 00021308
	v_cvt_pk_bf16_f32 v17, v10, v11                            // 000000006484: D2680011 0002170A
	v_cvt_pk_bf16_f32 v18, v12, v13                            // 00000000648C: D2680012 00021B0C
	v_cvt_pk_bf16_f32 v19, v14, v15                            // 000000006494: D2680013 00021F0E
	ds_write_b64 v4, v[16:17]                                  // 00000000649C: D89A0000 00001004
	ds_write_b64 v4, v[18:19] offset:32                        // 0000000064A4: D89A0020 00001204
	v_accvgpr_read_b32 v8, a32                                 // 0000000064AC: D3D84008 18000120
	v_mul_f32_e32 v8, s41, v8                                  // 0000000064B4: 0A101029
	v_accvgpr_read_b32 v9, a33                                 // 0000000064B8: D3D84009 18000121
	v_mul_f32_e32 v9, s41, v9                                  // 0000000064C0: 0A121229
	v_accvgpr_read_b32 v10, a34                                // 0000000064C4: D3D8400A 18000122
	v_mul_f32_e32 v10, s41, v10                                // 0000000064CC: 0A141429
	v_accvgpr_read_b32 v11, a35                                // 0000000064D0: D3D8400B 18000123
	v_mul_f32_e32 v11, s41, v11                                // 0000000064D8: 0A161629
	v_accvgpr_read_b32 v12, a48                                // 0000000064DC: D3D8400C 18000130
	v_mul_f32_e32 v12, s41, v12                                // 0000000064E4: 0A181829
	v_accvgpr_read_b32 v13, a49                                // 0000000064E8: D3D8400D 18000131
	v_mul_f32_e32 v13, s41, v13                                // 0000000064F0: 0A1A1A29
	v_accvgpr_read_b32 v14, a50                                // 0000000064F4: D3D8400E 18000132
	v_mul_f32_e32 v14, s41, v14                                // 0000000064FC: 0A1C1C29
	v_accvgpr_read_b32 v15, a51                                // 000000006500: D3D8400F 18000133
	v_mul_f32_e32 v15, s41, v15                                // 000000006508: 0A1E1E29
	v_cvt_pk_bf16_f32 v16, v8, v9                              // 00000000650C: D2680010 00021308
	v_cvt_pk_bf16_f32 v17, v10, v11                            // 000000006514: D2680011 0002170A
	v_cvt_pk_bf16_f32 v18, v12, v13                            // 00000000651C: D2680012 00021B0C
	v_cvt_pk_bf16_f32 v19, v14, v15                            // 000000006524: D2680013 00021F0E
	ds_write_b64 v4, v[16:17] offset:64                        // 00000000652C: D89A0040 00001004
	ds_write_b64 v4, v[18:19] offset:96                        // 000000006534: D89A0060 00001204
	v_accvgpr_read_b32 v8, a4                                  // 00000000653C: D3D84008 18000104
	v_mul_f32_e32 v8, s41, v8                                  // 000000006544: 0A101029
	v_accvgpr_read_b32 v9, a5                                  // 000000006548: D3D84009 18000105
	v_mul_f32_e32 v9, s41, v9                                  // 000000006550: 0A121229
	v_accvgpr_read_b32 v10, a6                                 // 000000006554: D3D8400A 18000106
	v_mul_f32_e32 v10, s41, v10                                // 00000000655C: 0A141429
	v_accvgpr_read_b32 v11, a7                                 // 000000006560: D3D8400B 18000107
	v_mul_f32_e32 v11, s41, v11                                // 000000006568: 0A161629
	v_accvgpr_read_b32 v12, a20                                // 00000000656C: D3D8400C 18000114
	v_mul_f32_e32 v12, s41, v12                                // 000000006574: 0A181829
	v_accvgpr_read_b32 v13, a21                                // 000000006578: D3D8400D 18000115
	v_mul_f32_e32 v13, s41, v13                                // 000000006580: 0A1A1A29
	v_accvgpr_read_b32 v14, a22                                // 000000006584: D3D8400E 18000116
	v_mul_f32_e32 v14, s41, v14                                // 00000000658C: 0A1C1C29
	v_accvgpr_read_b32 v15, a23                                // 000000006590: D3D8400F 18000117
	v_mul_f32_e32 v15, s41, v15                                // 000000006598: 0A1E1E29
	v_cvt_pk_bf16_f32 v16, v8, v9                              // 00000000659C: D2680010 00021308
	v_cvt_pk_bf16_f32 v17, v10, v11                            // 0000000065A4: D2680011 0002170A
	v_cvt_pk_bf16_f32 v18, v12, v13                            // 0000000065AC: D2680012 00021B0C
	v_cvt_pk_bf16_f32 v19, v14, v15                            // 0000000065B4: D2680013 00021F0E
	ds_write_b64 v4, v[16:17] offset:4096                      // 0000000065BC: D89A1000 00001004
	ds_write_b64 v4, v[18:19] offset:4128                      // 0000000065C4: D89A1020 00001204
	v_accvgpr_read_b32 v8, a36                                 // 0000000065CC: D3D84008 18000124
	v_mul_f32_e32 v8, s41, v8                                  // 0000000065D4: 0A101029
	v_accvgpr_read_b32 v9, a37                                 // 0000000065D8: D3D84009 18000125
	v_mul_f32_e32 v9, s41, v9                                  // 0000000065E0: 0A121229
	v_accvgpr_read_b32 v10, a38                                // 0000000065E4: D3D8400A 18000126
	v_mul_f32_e32 v10, s41, v10                                // 0000000065EC: 0A141429
	v_accvgpr_read_b32 v11, a39                                // 0000000065F0: D3D8400B 18000127
	v_mul_f32_e32 v11, s41, v11                                // 0000000065F8: 0A161629
	v_accvgpr_read_b32 v12, a52                                // 0000000065FC: D3D8400C 18000134
	v_mul_f32_e32 v12, s41, v12                                // 000000006604: 0A181829
	v_accvgpr_read_b32 v13, a53                                // 000000006608: D3D8400D 18000135
	v_mul_f32_e32 v13, s41, v13                                // 000000006610: 0A1A1A29
	v_accvgpr_read_b32 v14, a54                                // 000000006614: D3D8400E 18000136
	v_mul_f32_e32 v14, s41, v14                                // 00000000661C: 0A1C1C29
	v_accvgpr_read_b32 v15, a55                                // 000000006620: D3D8400F 18000137
	v_mul_f32_e32 v15, s41, v15                                // 000000006628: 0A1E1E29
	v_cvt_pk_bf16_f32 v16, v8, v9                              // 00000000662C: D2680010 00021308
	v_cvt_pk_bf16_f32 v17, v10, v11                            // 000000006634: D2680011 0002170A
	v_cvt_pk_bf16_f32 v18, v12, v13                            // 00000000663C: D2680012 00021B0C
	v_cvt_pk_bf16_f32 v19, v14, v15                            // 000000006644: D2680013 00021F0E
	ds_write_b64 v4, v[16:17] offset:4160                      // 00000000664C: D89A1040 00001004
	ds_write_b64 v4, v[18:19] offset:4192                      // 000000006654: D89A1060 00001204
	v_accvgpr_read_b32 v8, a8                                  // 00000000665C: D3D84008 18000108
	v_mul_f32_e32 v8, s41, v8                                  // 000000006664: 0A101029
	v_accvgpr_read_b32 v9, a9                                  // 000000006668: D3D84009 18000109
	v_mul_f32_e32 v9, s41, v9                                  // 000000006670: 0A121229
	v_accvgpr_read_b32 v10, a10                                // 000000006674: D3D8400A 1800010A
	v_mul_f32_e32 v10, s41, v10                                // 00000000667C: 0A141429
	v_accvgpr_read_b32 v11, a11                                // 000000006680: D3D8400B 1800010B
	v_mul_f32_e32 v11, s41, v11                                // 000000006688: 0A161629
	v_accvgpr_read_b32 v12, a24                                // 00000000668C: D3D8400C 18000118
	v_mul_f32_e32 v12, s41, v12                                // 000000006694: 0A181829
	v_accvgpr_read_b32 v13, a25                                // 000000006698: D3D8400D 18000119
	v_mul_f32_e32 v13, s41, v13                                // 0000000066A0: 0A1A1A29
	v_accvgpr_read_b32 v14, a26                                // 0000000066A4: D3D8400E 1800011A
	v_mul_f32_e32 v14, s41, v14                                // 0000000066AC: 0A1C1C29
	v_accvgpr_read_b32 v15, a27                                // 0000000066B0: D3D8400F 1800011B
	v_mul_f32_e32 v15, s41, v15                                // 0000000066B8: 0A1E1E29
	v_cvt_pk_bf16_f32 v16, v8, v9                              // 0000000066BC: D2680010 00021308
	v_cvt_pk_bf16_f32 v17, v10, v11                            // 0000000066C4: D2680011 0002170A
	v_cvt_pk_bf16_f32 v18, v12, v13                            // 0000000066CC: D2680012 00021B0C
	v_cvt_pk_bf16_f32 v19, v14, v15                            // 0000000066D4: D2680013 00021F0E
	ds_write_b64 v4, v[16:17] offset:8192                      // 0000000066DC: D89A2000 00001004
	ds_write_b64 v4, v[18:19] offset:8224                      // 0000000066E4: D89A2020 00001204
	v_accvgpr_read_b32 v8, a40                                 // 0000000066EC: D3D84008 18000128
	v_mul_f32_e32 v8, s41, v8                                  // 0000000066F4: 0A101029
	v_accvgpr_read_b32 v9, a41                                 // 0000000066F8: D3D84009 18000129
	v_mul_f32_e32 v9, s41, v9                                  // 000000006700: 0A121229
	v_accvgpr_read_b32 v10, a42                                // 000000006704: D3D8400A 1800012A
	v_mul_f32_e32 v10, s41, v10                                // 00000000670C: 0A141429
	v_accvgpr_read_b32 v11, a43                                // 000000006710: D3D8400B 1800012B
	v_mul_f32_e32 v11, s41, v11                                // 000000006718: 0A161629
	v_accvgpr_read_b32 v12, a56                                // 00000000671C: D3D8400C 18000138
	v_mul_f32_e32 v12, s41, v12                                // 000000006724: 0A181829
	v_accvgpr_read_b32 v13, a57                                // 000000006728: D3D8400D 18000139
	v_mul_f32_e32 v13, s41, v13                                // 000000006730: 0A1A1A29
	v_accvgpr_read_b32 v14, a58                                // 000000006734: D3D8400E 1800013A
	v_mul_f32_e32 v14, s41, v14                                // 00000000673C: 0A1C1C29
	v_accvgpr_read_b32 v15, a59                                // 000000006740: D3D8400F 1800013B
	v_mul_f32_e32 v15, s41, v15                                // 000000006748: 0A1E1E29
	v_cvt_pk_bf16_f32 v16, v8, v9                              // 00000000674C: D2680010 00021308
	v_cvt_pk_bf16_f32 v17, v10, v11                            // 000000006754: D2680011 0002170A
	v_cvt_pk_bf16_f32 v18, v12, v13                            // 00000000675C: D2680012 00021B0C
	v_cvt_pk_bf16_f32 v19, v14, v15                            // 000000006764: D2680013 00021F0E
	ds_write_b64 v4, v[16:17] offset:8256                      // 00000000676C: D89A2040 00001004
	ds_write_b64 v4, v[18:19] offset:8288                      // 000000006774: D89A2060 00001204
	v_accvgpr_read_b32 v8, a12                                 // 00000000677C: D3D84008 1800010C
	v_mul_f32_e32 v8, s41, v8                                  // 000000006784: 0A101029
	v_accvgpr_read_b32 v9, a13                                 // 000000006788: D3D84009 1800010D
	v_mul_f32_e32 v9, s41, v9                                  // 000000006790: 0A121229
	v_accvgpr_read_b32 v10, a14                                // 000000006794: D3D8400A 1800010E
	v_mul_f32_e32 v10, s41, v10                                // 00000000679C: 0A141429
	v_accvgpr_read_b32 v11, a15                                // 0000000067A0: D3D8400B 1800010F
	v_mul_f32_e32 v11, s41, v11                                // 0000000067A8: 0A161629
	v_accvgpr_read_b32 v12, a28                                // 0000000067AC: D3D8400C 1800011C
	v_mul_f32_e32 v12, s41, v12                                // 0000000067B4: 0A181829
	v_accvgpr_read_b32 v13, a29                                // 0000000067B8: D3D8400D 1800011D
	v_mul_f32_e32 v13, s41, v13                                // 0000000067C0: 0A1A1A29
	v_accvgpr_read_b32 v14, a30                                // 0000000067C4: D3D8400E 1800011E
	v_mul_f32_e32 v14, s41, v14                                // 0000000067CC: 0A1C1C29
	v_accvgpr_read_b32 v15, a31                                // 0000000067D0: D3D8400F 1800011F
	v_mul_f32_e32 v15, s41, v15                                // 0000000067D8: 0A1E1E29
	v_cvt_pk_bf16_f32 v16, v8, v9                              // 0000000067DC: D2680010 00021308
	v_cvt_pk_bf16_f32 v17, v10, v11                            // 0000000067E4: D2680011 0002170A
	v_cvt_pk_bf16_f32 v18, v12, v13                            // 0000000067EC: D2680012 00021B0C
	v_cvt_pk_bf16_f32 v19, v14, v15                            // 0000000067F4: D2680013 00021F0E
	ds_write_b64 v4, v[16:17] offset:12288                     // 0000000067FC: D89A3000 00001004
	ds_write_b64 v4, v[18:19] offset:12320                     // 000000006804: D89A3020 00001204
	v_accvgpr_read_b32 v8, a44                                 // 00000000680C: D3D84008 1800012C
	v_mul_f32_e32 v8, s41, v8                                  // 000000006814: 0A101029
	v_accvgpr_read_b32 v9, a45                                 // 000000006818: D3D84009 1800012D
	v_mul_f32_e32 v9, s41, v9                                  // 000000006820: 0A121229
	v_accvgpr_read_b32 v10, a46                                // 000000006824: D3D8400A 1800012E
	v_mul_f32_e32 v10, s41, v10                                // 00000000682C: 0A141429
	v_accvgpr_read_b32 v11, a47                                // 000000006830: D3D8400B 1800012F
	v_mul_f32_e32 v11, s41, v11                                // 000000006838: 0A161629
	v_accvgpr_read_b32 v12, a60                                // 00000000683C: D3D8400C 1800013C
	v_mul_f32_e32 v12, s41, v12                                // 000000006844: 0A181829
	v_accvgpr_read_b32 v13, a61                                // 000000006848: D3D8400D 1800013D
	v_mul_f32_e32 v13, s41, v13                                // 000000006850: 0A1A1A29
	v_accvgpr_read_b32 v14, a62                                // 000000006854: D3D8400E 1800013E
	v_mul_f32_e32 v14, s41, v14                                // 00000000685C: 0A1C1C29
	v_accvgpr_read_b32 v15, a63                                // 000000006860: D3D8400F 1800013F
	v_mul_f32_e32 v15, s41, v15                                // 000000006868: 0A1E1E29
	v_cvt_pk_bf16_f32 v16, v8, v9                              // 00000000686C: D2680010 00021308
	v_cvt_pk_bf16_f32 v17, v10, v11                            // 000000006874: D2680011 0002170A
	v_cvt_pk_bf16_f32 v18, v12, v13                            // 00000000687C: D2680012 00021B0C
	v_cvt_pk_bf16_f32 v19, v14, v15                            // 000000006884: D2680013 00021F0E
	ds_write_b64 v4, v[16:17] offset:12352                     // 00000000688C: D89A3040 00001004
	ds_write_b64 v4, v[18:19] offset:12384                     // 000000006894: D89A3060 00001204
	v_accvgpr_read_b32 v8, a64                                 // 00000000689C: D3D84008 18000140
	v_mul_f32_e32 v8, s41, v8                                  // 0000000068A4: 0A101029
	v_accvgpr_read_b32 v9, a65                                 // 0000000068A8: D3D84009 18000141
	v_mul_f32_e32 v9, s41, v9                                  // 0000000068B0: 0A121229
	v_accvgpr_read_b32 v10, a66                                // 0000000068B4: D3D8400A 18000142
	v_mul_f32_e32 v10, s41, v10                                // 0000000068BC: 0A141429
	v_accvgpr_read_b32 v11, a67                                // 0000000068C0: D3D8400B 18000143
	v_mul_f32_e32 v11, s41, v11                                // 0000000068C8: 0A161629
	v_accvgpr_read_b32 v12, a80                                // 0000000068CC: D3D8400C 18000150
	v_mul_f32_e32 v12, s41, v12                                // 0000000068D4: 0A181829
	v_accvgpr_read_b32 v13, a81                                // 0000000068D8: D3D8400D 18000151
	v_mul_f32_e32 v13, s41, v13                                // 0000000068E0: 0A1A1A29
	v_accvgpr_read_b32 v14, a82                                // 0000000068E4: D3D8400E 18000152
	v_mul_f32_e32 v14, s41, v14                                // 0000000068EC: 0A1C1C29
	v_accvgpr_read_b32 v15, a83                                // 0000000068F0: D3D8400F 18000153
	v_mul_f32_e32 v15, s41, v15                                // 0000000068F8: 0A1E1E29
	v_cvt_pk_bf16_f32 v16, v8, v9                              // 0000000068FC: D2680010 00021308
	v_cvt_pk_bf16_f32 v17, v10, v11                            // 000000006904: D2680011 0002170A
	v_cvt_pk_bf16_f32 v18, v12, v13                            // 00000000690C: D2680012 00021B0C
	v_cvt_pk_bf16_f32 v19, v14, v15                            // 000000006914: D2680013 00021F0E
	ds_write_b64 v4, v[16:17] offset:128                       // 00000000691C: D89A0080 00001004
	ds_write_b64 v4, v[18:19] offset:160                       // 000000006924: D89A00A0 00001204
	v_accvgpr_read_b32 v8, a96                                 // 00000000692C: D3D84008 18000160
	v_mul_f32_e32 v8, s41, v8                                  // 000000006934: 0A101029
	v_accvgpr_read_b32 v9, a97                                 // 000000006938: D3D84009 18000161
	v_mul_f32_e32 v9, s41, v9                                  // 000000006940: 0A121229
	v_accvgpr_read_b32 v10, a98                                // 000000006944: D3D8400A 18000162
	v_mul_f32_e32 v10, s41, v10                                // 00000000694C: 0A141429
	v_accvgpr_read_b32 v11, a99                                // 000000006950: D3D8400B 18000163
	v_mul_f32_e32 v11, s41, v11                                // 000000006958: 0A161629
	v_accvgpr_read_b32 v12, a112                               // 00000000695C: D3D8400C 18000170
	v_mul_f32_e32 v12, s41, v12                                // 000000006964: 0A181829
	v_accvgpr_read_b32 v13, a113                               // 000000006968: D3D8400D 18000171
	v_mul_f32_e32 v13, s41, v13                                // 000000006970: 0A1A1A29
	v_accvgpr_read_b32 v14, a114                               // 000000006974: D3D8400E 18000172
	v_mul_f32_e32 v14, s41, v14                                // 00000000697C: 0A1C1C29
	v_accvgpr_read_b32 v15, a115                               // 000000006980: D3D8400F 18000173
	v_mul_f32_e32 v15, s41, v15                                // 000000006988: 0A1E1E29
	v_cvt_pk_bf16_f32 v16, v8, v9                              // 00000000698C: D2680010 00021308
	v_cvt_pk_bf16_f32 v17, v10, v11                            // 000000006994: D2680011 0002170A
	v_cvt_pk_bf16_f32 v18, v12, v13                            // 00000000699C: D2680012 00021B0C
	v_cvt_pk_bf16_f32 v19, v14, v15                            // 0000000069A4: D2680013 00021F0E
	ds_write_b64 v4, v[16:17] offset:192                       // 0000000069AC: D89A00C0 00001004
	ds_write_b64 v4, v[18:19] offset:224                       // 0000000069B4: D89A00E0 00001204
	v_accvgpr_read_b32 v8, a68                                 // 0000000069BC: D3D84008 18000144
	v_mul_f32_e32 v8, s41, v8                                  // 0000000069C4: 0A101029
	v_accvgpr_read_b32 v9, a69                                 // 0000000069C8: D3D84009 18000145
	v_mul_f32_e32 v9, s41, v9                                  // 0000000069D0: 0A121229
	v_accvgpr_read_b32 v10, a70                                // 0000000069D4: D3D8400A 18000146
	v_mul_f32_e32 v10, s41, v10                                // 0000000069DC: 0A141429
	v_accvgpr_read_b32 v11, a71                                // 0000000069E0: D3D8400B 18000147
	v_mul_f32_e32 v11, s41, v11                                // 0000000069E8: 0A161629
	v_accvgpr_read_b32 v12, a84                                // 0000000069EC: D3D8400C 18000154
	v_mul_f32_e32 v12, s41, v12                                // 0000000069F4: 0A181829
	v_accvgpr_read_b32 v13, a85                                // 0000000069F8: D3D8400D 18000155
	v_mul_f32_e32 v13, s41, v13                                // 000000006A00: 0A1A1A29
	v_accvgpr_read_b32 v14, a86                                // 000000006A04: D3D8400E 18000156
	v_mul_f32_e32 v14, s41, v14                                // 000000006A0C: 0A1C1C29
	v_accvgpr_read_b32 v15, a87                                // 000000006A10: D3D8400F 18000157
	v_mul_f32_e32 v15, s41, v15                                // 000000006A18: 0A1E1E29
	v_cvt_pk_bf16_f32 v16, v8, v9                              // 000000006A1C: D2680010 00021308
	v_cvt_pk_bf16_f32 v17, v10, v11                            // 000000006A24: D2680011 0002170A
	v_cvt_pk_bf16_f32 v18, v12, v13                            // 000000006A2C: D2680012 00021B0C
	v_cvt_pk_bf16_f32 v19, v14, v15                            // 000000006A34: D2680013 00021F0E
	ds_write_b64 v4, v[16:17] offset:4224                      // 000000006A3C: D89A1080 00001004
	ds_write_b64 v4, v[18:19] offset:4256                      // 000000006A44: D89A10A0 00001204
	v_accvgpr_read_b32 v8, a100                                // 000000006A4C: D3D84008 18000164
	v_mul_f32_e32 v8, s41, v8                                  // 000000006A54: 0A101029
	v_accvgpr_read_b32 v9, a101                                // 000000006A58: D3D84009 18000165
	v_mul_f32_e32 v9, s41, v9                                  // 000000006A60: 0A121229
	v_accvgpr_read_b32 v10, a102                               // 000000006A64: D3D8400A 18000166
	v_mul_f32_e32 v10, s41, v10                                // 000000006A6C: 0A141429
	v_accvgpr_read_b32 v11, a103                               // 000000006A70: D3D8400B 18000167
	v_mul_f32_e32 v11, s41, v11                                // 000000006A78: 0A161629
	v_accvgpr_read_b32 v12, a116                               // 000000006A7C: D3D8400C 18000174
	v_mul_f32_e32 v12, s41, v12                                // 000000006A84: 0A181829
	v_accvgpr_read_b32 v13, a117                               // 000000006A88: D3D8400D 18000175
	v_mul_f32_e32 v13, s41, v13                                // 000000006A90: 0A1A1A29
	v_accvgpr_read_b32 v14, a118                               // 000000006A94: D3D8400E 18000176
	v_mul_f32_e32 v14, s41, v14                                // 000000006A9C: 0A1C1C29
	v_accvgpr_read_b32 v15, a119                               // 000000006AA0: D3D8400F 18000177
	v_mul_f32_e32 v15, s41, v15                                // 000000006AA8: 0A1E1E29
	v_cvt_pk_bf16_f32 v16, v8, v9                              // 000000006AAC: D2680010 00021308
	v_cvt_pk_bf16_f32 v17, v10, v11                            // 000000006AB4: D2680011 0002170A
	v_cvt_pk_bf16_f32 v18, v12, v13                            // 000000006ABC: D2680012 00021B0C
	v_cvt_pk_bf16_f32 v19, v14, v15                            // 000000006AC4: D2680013 00021F0E
	ds_write_b64 v4, v[16:17] offset:4288                      // 000000006ACC: D89A10C0 00001004
	ds_write_b64 v4, v[18:19] offset:4320                      // 000000006AD4: D89A10E0 00001204
	v_accvgpr_read_b32 v8, a72                                 // 000000006ADC: D3D84008 18000148
	v_mul_f32_e32 v8, s41, v8                                  // 000000006AE4: 0A101029
	v_accvgpr_read_b32 v9, a73                                 // 000000006AE8: D3D84009 18000149
	v_mul_f32_e32 v9, s41, v9                                  // 000000006AF0: 0A121229
	v_accvgpr_read_b32 v10, a74                                // 000000006AF4: D3D8400A 1800014A
	v_mul_f32_e32 v10, s41, v10                                // 000000006AFC: 0A141429
	v_accvgpr_read_b32 v11, a75                                // 000000006B00: D3D8400B 1800014B
	v_mul_f32_e32 v11, s41, v11                                // 000000006B08: 0A161629
	v_accvgpr_read_b32 v12, a88                                // 000000006B0C: D3D8400C 18000158
	v_mul_f32_e32 v12, s41, v12                                // 000000006B14: 0A181829
	v_accvgpr_read_b32 v13, a89                                // 000000006B18: D3D8400D 18000159
	v_mul_f32_e32 v13, s41, v13                                // 000000006B20: 0A1A1A29
	v_accvgpr_read_b32 v14, a90                                // 000000006B24: D3D8400E 1800015A
	v_mul_f32_e32 v14, s41, v14                                // 000000006B2C: 0A1C1C29
	v_accvgpr_read_b32 v15, a91                                // 000000006B30: D3D8400F 1800015B
	v_mul_f32_e32 v15, s41, v15                                // 000000006B38: 0A1E1E29
	v_cvt_pk_bf16_f32 v16, v8, v9                              // 000000006B3C: D2680010 00021308
	v_cvt_pk_bf16_f32 v17, v10, v11                            // 000000006B44: D2680011 0002170A
	v_cvt_pk_bf16_f32 v18, v12, v13                            // 000000006B4C: D2680012 00021B0C
	v_cvt_pk_bf16_f32 v19, v14, v15                            // 000000006B54: D2680013 00021F0E
	ds_write_b64 v4, v[16:17] offset:8320                      // 000000006B5C: D89A2080 00001004
	ds_write_b64 v4, v[18:19] offset:8352                      // 000000006B64: D89A20A0 00001204
	v_accvgpr_read_b32 v8, a104                                // 000000006B6C: D3D84008 18000168
	v_mul_f32_e32 v8, s41, v8                                  // 000000006B74: 0A101029
	v_accvgpr_read_b32 v9, a105                                // 000000006B78: D3D84009 18000169
	v_mul_f32_e32 v9, s41, v9                                  // 000000006B80: 0A121229
	v_accvgpr_read_b32 v10, a106                               // 000000006B84: D3D8400A 1800016A
	v_mul_f32_e32 v10, s41, v10                                // 000000006B8C: 0A141429
	v_accvgpr_read_b32 v11, a107                               // 000000006B90: D3D8400B 1800016B
	v_mul_f32_e32 v11, s41, v11                                // 000000006B98: 0A161629
	v_accvgpr_read_b32 v12, a120                               // 000000006B9C: D3D8400C 18000178
	v_mul_f32_e32 v12, s41, v12                                // 000000006BA4: 0A181829
	v_accvgpr_read_b32 v13, a121                               // 000000006BA8: D3D8400D 18000179
	v_mul_f32_e32 v13, s41, v13                                // 000000006BB0: 0A1A1A29
	v_accvgpr_read_b32 v14, a122                               // 000000006BB4: D3D8400E 1800017A
	v_mul_f32_e32 v14, s41, v14                                // 000000006BBC: 0A1C1C29
	v_accvgpr_read_b32 v15, a123                               // 000000006BC0: D3D8400F 1800017B
	v_mul_f32_e32 v15, s41, v15                                // 000000006BC8: 0A1E1E29
	v_cvt_pk_bf16_f32 v16, v8, v9                              // 000000006BCC: D2680010 00021308
	v_cvt_pk_bf16_f32 v17, v10, v11                            // 000000006BD4: D2680011 0002170A
	v_cvt_pk_bf16_f32 v18, v12, v13                            // 000000006BDC: D2680012 00021B0C
	v_cvt_pk_bf16_f32 v19, v14, v15                            // 000000006BE4: D2680013 00021F0E
	ds_write_b64 v4, v[16:17] offset:8384                      // 000000006BEC: D89A20C0 00001004
	ds_write_b64 v4, v[18:19] offset:8416                      // 000000006BF4: D89A20E0 00001204
	v_accvgpr_read_b32 v8, a76                                 // 000000006BFC: D3D84008 1800014C
	v_mul_f32_e32 v8, s41, v8                                  // 000000006C04: 0A101029
	v_accvgpr_read_b32 v9, a77                                 // 000000006C08: D3D84009 1800014D
	v_mul_f32_e32 v9, s41, v9                                  // 000000006C10: 0A121229
	v_accvgpr_read_b32 v10, a78                                // 000000006C14: D3D8400A 1800014E
	v_mul_f32_e32 v10, s41, v10                                // 000000006C1C: 0A141429
	v_accvgpr_read_b32 v11, a79                                // 000000006C20: D3D8400B 1800014F
	v_mul_f32_e32 v11, s41, v11                                // 000000006C28: 0A161629
	v_accvgpr_read_b32 v12, a92                                // 000000006C2C: D3D8400C 1800015C
	v_mul_f32_e32 v12, s41, v12                                // 000000006C34: 0A181829
	v_accvgpr_read_b32 v13, a93                                // 000000006C38: D3D8400D 1800015D
	v_mul_f32_e32 v13, s41, v13                                // 000000006C40: 0A1A1A29
	v_accvgpr_read_b32 v14, a94                                // 000000006C44: D3D8400E 1800015E
	v_mul_f32_e32 v14, s41, v14                                // 000000006C4C: 0A1C1C29
	v_accvgpr_read_b32 v15, a95                                // 000000006C50: D3D8400F 1800015F
	v_mul_f32_e32 v15, s41, v15                                // 000000006C58: 0A1E1E29
	v_cvt_pk_bf16_f32 v16, v8, v9                              // 000000006C5C: D2680010 00021308
	v_cvt_pk_bf16_f32 v17, v10, v11                            // 000000006C64: D2680011 0002170A
	v_cvt_pk_bf16_f32 v18, v12, v13                            // 000000006C6C: D2680012 00021B0C
	v_cvt_pk_bf16_f32 v19, v14, v15                            // 000000006C74: D2680013 00021F0E
	ds_write_b64 v4, v[16:17] offset:12416                     // 000000006C7C: D89A3080 00001004
	ds_write_b64 v4, v[18:19] offset:12448                     // 000000006C84: D89A30A0 00001204
	v_accvgpr_read_b32 v8, a108                                // 000000006C8C: D3D84008 1800016C
	v_mul_f32_e32 v8, s41, v8                                  // 000000006C94: 0A101029
	v_accvgpr_read_b32 v9, a109                                // 000000006C98: D3D84009 1800016D
	v_mul_f32_e32 v9, s41, v9                                  // 000000006CA0: 0A121229
	v_accvgpr_read_b32 v10, a110                               // 000000006CA4: D3D8400A 1800016E
	v_mul_f32_e32 v10, s41, v10                                // 000000006CAC: 0A141429
	v_accvgpr_read_b32 v11, a111                               // 000000006CB0: D3D8400B 1800016F
	v_mul_f32_e32 v11, s41, v11                                // 000000006CB8: 0A161629
	v_accvgpr_read_b32 v12, a124                               // 000000006CBC: D3D8400C 1800017C
	v_mul_f32_e32 v12, s41, v12                                // 000000006CC4: 0A181829
	v_accvgpr_read_b32 v13, a125                               // 000000006CC8: D3D8400D 1800017D
	v_mul_f32_e32 v13, s41, v13                                // 000000006CD0: 0A1A1A29
	v_accvgpr_read_b32 v14, a126                               // 000000006CD4: D3D8400E 1800017E
	v_mul_f32_e32 v14, s41, v14                                // 000000006CDC: 0A1C1C29
	v_accvgpr_read_b32 v15, a127                               // 000000006CE0: D3D8400F 1800017F
	v_mul_f32_e32 v15, s41, v15                                // 000000006CE8: 0A1E1E29
	v_cvt_pk_bf16_f32 v16, v8, v9                              // 000000006CEC: D2680010 00021308
	v_cvt_pk_bf16_f32 v17, v10, v11                            // 000000006CF4: D2680011 0002170A
	v_cvt_pk_bf16_f32 v18, v12, v13                            // 000000006CFC: D2680012 00021B0C
	v_cvt_pk_bf16_f32 v19, v14, v15                            // 000000006D04: D2680013 00021F0E
	ds_write_b64 v4, v[16:17] offset:12480                     // 000000006D0C: D89A30C0 00001004
	ds_write_b64 v4, v[18:19] offset:12512                     // 000000006D14: D89A30E0 00001204
	s_waitcnt lgkmcnt(0)                                       // 000000006D1C: BF8CC07F
	v_mul_i32_i24_e64 v4, v0, 4                                // 000000006D20: D1060004 00010900
	v_add_i32 v4, v4, s62                                      // 000000006D28: D29C0004 00007D04
	s_mul_i32 s63, s36, 0                                      // 000000006D30: 923F8024
	v_add_u32_e32 v244, s63, v240                              // 000000006D34: 69E9E03F
	ds_read_b32 v16, v4                                        // 000000006D38: D86C0000 10000004
	ds_read_b32 v17, v4 offset:256                             // 000000006D40: D86C0100 11000004
	ds_read_b32 v18, v4 offset:512                             // 000000006D48: D86C0200 12000004
	ds_read_b32 v19, v4 offset:768                             // 000000006D50: D86C0300 13000004
	s_waitcnt lgkmcnt(3)                                       // 000000006D58: BF8CC37F
	buffer_atomic_pk_add_bf16 v16, v244, s[4:7], 0 offen       // 000000006D5C: E1481000 800110F4
	v_add_u32_e64 v244, v244, s36                              // 000000006D64: D13400F4 000049F4
	s_waitcnt lgkmcnt(2)                                       // 000000006D6C: BF8CC27F
	buffer_atomic_pk_add_bf16 v17, v244, s[4:7], 0 offen       // 000000006D70: E1481000 800111F4
	v_add_u32_e64 v244, v244, s36                              // 000000006D78: D13400F4 000049F4
	s_waitcnt lgkmcnt(1)                                       // 000000006D80: BF8CC17F
	buffer_atomic_pk_add_bf16 v18, v244, s[4:7], 0 offen       // 000000006D84: E1481000 800112F4
	v_add_u32_e64 v244, v244, s36                              // 000000006D8C: D13400F4 000049F4
	s_waitcnt lgkmcnt(0)                                       // 000000006D94: BF8CC07F
	buffer_atomic_pk_add_bf16 v19, v244, s[4:7], 0 offen       // 000000006D98: E1481000 800113F4
	v_add_u32_e64 v244, v244, s36                              // 000000006DA0: D13400F4 000049F4
	s_mul_i32 s63, s36, 4                                      // 000000006DA8: 923F8424
	v_add_u32_e32 v244, s63, v240                              // 000000006DAC: 69E9E03F
	ds_read_b32 v16, v4 offset:1024                            // 000000006DB0: D86C0400 10000004
	ds_read_b32 v17, v4 offset:1280                            // 000000006DB8: D86C0500 11000004
	ds_read_b32 v18, v4 offset:1536                            // 000000006DC0: D86C0600 12000004
	ds_read_b32 v19, v4 offset:1792                            // 000000006DC8: D86C0700 13000004
	s_waitcnt lgkmcnt(3)                                       // 000000006DD0: BF8CC37F
	buffer_atomic_pk_add_bf16 v16, v244, s[4:7], 0 offen       // 000000006DD4: E1481000 800110F4
	v_add_u32_e64 v244, v244, s36                              // 000000006DDC: D13400F4 000049F4
	s_waitcnt lgkmcnt(2)                                       // 000000006DE4: BF8CC27F
	buffer_atomic_pk_add_bf16 v17, v244, s[4:7], 0 offen       // 000000006DE8: E1481000 800111F4
	v_add_u32_e64 v244, v244, s36                              // 000000006DF0: D13400F4 000049F4
	s_waitcnt lgkmcnt(1)                                       // 000000006DF8: BF8CC17F
	buffer_atomic_pk_add_bf16 v18, v244, s[4:7], 0 offen       // 000000006DFC: E1481000 800112F4
	v_add_u32_e64 v244, v244, s36                              // 000000006E04: D13400F4 000049F4
	s_waitcnt lgkmcnt(0)                                       // 000000006E0C: BF8CC07F
	buffer_atomic_pk_add_bf16 v19, v244, s[4:7], 0 offen       // 000000006E10: E1481000 800113F4
	v_add_u32_e64 v244, v244, s36                              // 000000006E18: D13400F4 000049F4
	s_mul_i32 s63, s36, 8                                      // 000000006E20: 923F8824
	v_add_u32_e32 v244, s63, v240                              // 000000006E24: 69E9E03F
	ds_read_b32 v16, v4 offset:2048                            // 000000006E28: D86C0800 10000004
	ds_read_b32 v17, v4 offset:2304                            // 000000006E30: D86C0900 11000004
	ds_read_b32 v18, v4 offset:2560                            // 000000006E38: D86C0A00 12000004
	ds_read_b32 v19, v4 offset:2816                            // 000000006E40: D86C0B00 13000004
	s_waitcnt lgkmcnt(3)                                       // 000000006E48: BF8CC37F
	buffer_atomic_pk_add_bf16 v16, v244, s[4:7], 0 offen       // 000000006E4C: E1481000 800110F4
	v_add_u32_e64 v244, v244, s36                              // 000000006E54: D13400F4 000049F4
	s_waitcnt lgkmcnt(2)                                       // 000000006E5C: BF8CC27F
	buffer_atomic_pk_add_bf16 v17, v244, s[4:7], 0 offen       // 000000006E60: E1481000 800111F4
	v_add_u32_e64 v244, v244, s36                              // 000000006E68: D13400F4 000049F4
	s_waitcnt lgkmcnt(1)                                       // 000000006E70: BF8CC17F
	buffer_atomic_pk_add_bf16 v18, v244, s[4:7], 0 offen       // 000000006E74: E1481000 800112F4
	v_add_u32_e64 v244, v244, s36                              // 000000006E7C: D13400F4 000049F4
	s_waitcnt lgkmcnt(0)                                       // 000000006E84: BF8CC07F
	buffer_atomic_pk_add_bf16 v19, v244, s[4:7], 0 offen       // 000000006E88: E1481000 800113F4
	v_add_u32_e64 v244, v244, s36                              // 000000006E90: D13400F4 000049F4
	s_mul_i32 s63, s36, 12                                     // 000000006E98: 923F8C24
	v_add_u32_e32 v244, s63, v240                              // 000000006E9C: 69E9E03F
	ds_read_b32 v16, v4 offset:3072                            // 000000006EA0: D86C0C00 10000004
	ds_read_b32 v17, v4 offset:3328                            // 000000006EA8: D86C0D00 11000004
	ds_read_b32 v18, v4 offset:3584                            // 000000006EB0: D86C0E00 12000004
	ds_read_b32 v19, v4 offset:3840                            // 000000006EB8: D86C0F00 13000004
	s_waitcnt lgkmcnt(3)                                       // 000000006EC0: BF8CC37F
	buffer_atomic_pk_add_bf16 v16, v244, s[4:7], 0 offen       // 000000006EC4: E1481000 800110F4
	v_add_u32_e64 v244, v244, s36                              // 000000006ECC: D13400F4 000049F4
	s_waitcnt lgkmcnt(2)                                       // 000000006ED4: BF8CC27F
	buffer_atomic_pk_add_bf16 v17, v244, s[4:7], 0 offen       // 000000006ED8: E1481000 800111F4
	v_add_u32_e64 v244, v244, s36                              // 000000006EE0: D13400F4 000049F4
	s_waitcnt lgkmcnt(1)                                       // 000000006EE8: BF8CC17F
	buffer_atomic_pk_add_bf16 v18, v244, s[4:7], 0 offen       // 000000006EEC: E1481000 800112F4
	v_add_u32_e64 v244, v244, s36                              // 000000006EF4: D13400F4 000049F4
	s_waitcnt lgkmcnt(0)                                       // 000000006EFC: BF8CC07F
	buffer_atomic_pk_add_bf16 v19, v244, s[4:7], 0 offen       // 000000006F00: E1481000 800113F4
	v_add_u32_e64 v244, v244, s36                              // 000000006F08: D13400F4 000049F4
	s_mul_i32 s63, s36, 16                                     // 000000006F10: 923F9024
	v_add_u32_e32 v244, s63, v240                              // 000000006F14: 69E9E03F
	ds_read_b32 v16, v4 offset:4096                            // 000000006F18: D86C1000 10000004
	ds_read_b32 v17, v4 offset:4352                            // 000000006F20: D86C1100 11000004
	ds_read_b32 v18, v4 offset:4608                            // 000000006F28: D86C1200 12000004
	ds_read_b32 v19, v4 offset:4864                            // 000000006F30: D86C1300 13000004
	s_waitcnt lgkmcnt(3)                                       // 000000006F38: BF8CC37F
	buffer_atomic_pk_add_bf16 v16, v244, s[4:7], 0 offen       // 000000006F3C: E1481000 800110F4
	v_add_u32_e64 v244, v244, s36                              // 000000006F44: D13400F4 000049F4
	s_waitcnt lgkmcnt(2)                                       // 000000006F4C: BF8CC27F
	buffer_atomic_pk_add_bf16 v17, v244, s[4:7], 0 offen       // 000000006F50: E1481000 800111F4
	v_add_u32_e64 v244, v244, s36                              // 000000006F58: D13400F4 000049F4
	s_waitcnt lgkmcnt(1)                                       // 000000006F60: BF8CC17F
	buffer_atomic_pk_add_bf16 v18, v244, s[4:7], 0 offen       // 000000006F64: E1481000 800112F4
	v_add_u32_e64 v244, v244, s36                              // 000000006F6C: D13400F4 000049F4
	s_waitcnt lgkmcnt(0)                                       // 000000006F74: BF8CC07F
	buffer_atomic_pk_add_bf16 v19, v244, s[4:7], 0 offen       // 000000006F78: E1481000 800113F4
	v_add_u32_e64 v244, v244, s36                              // 000000006F80: D13400F4 000049F4
	s_mul_i32 s63, s36, 20                                     // 000000006F88: 923F9424
	v_add_u32_e32 v244, s63, v240                              // 000000006F8C: 69E9E03F
	ds_read_b32 v16, v4 offset:5120                            // 000000006F90: D86C1400 10000004
	ds_read_b32 v17, v4 offset:5376                            // 000000006F98: D86C1500 11000004
	ds_read_b32 v18, v4 offset:5632                            // 000000006FA0: D86C1600 12000004
	ds_read_b32 v19, v4 offset:5888                            // 000000006FA8: D86C1700 13000004
	s_waitcnt lgkmcnt(3)                                       // 000000006FB0: BF8CC37F
	buffer_atomic_pk_add_bf16 v16, v244, s[4:7], 0 offen       // 000000006FB4: E1481000 800110F4
	v_add_u32_e64 v244, v244, s36                              // 000000006FBC: D13400F4 000049F4
	s_waitcnt lgkmcnt(2)                                       // 000000006FC4: BF8CC27F
	buffer_atomic_pk_add_bf16 v17, v244, s[4:7], 0 offen       // 000000006FC8: E1481000 800111F4
	v_add_u32_e64 v244, v244, s36                              // 000000006FD0: D13400F4 000049F4
	s_waitcnt lgkmcnt(1)                                       // 000000006FD8: BF8CC17F
	buffer_atomic_pk_add_bf16 v18, v244, s[4:7], 0 offen       // 000000006FDC: E1481000 800112F4
	v_add_u32_e64 v244, v244, s36                              // 000000006FE4: D13400F4 000049F4
	s_waitcnt lgkmcnt(0)                                       // 000000006FEC: BF8CC07F
	buffer_atomic_pk_add_bf16 v19, v244, s[4:7], 0 offen       // 000000006FF0: E1481000 800113F4
	v_add_u32_e64 v244, v244, s36                              // 000000006FF8: D13400F4 000049F4
	s_mul_i32 s63, s36, 24                                     // 000000007000: 923F9824
	v_add_u32_e32 v244, s63, v240                              // 000000007004: 69E9E03F
	ds_read_b32 v16, v4 offset:6144                            // 000000007008: D86C1800 10000004
	ds_read_b32 v17, v4 offset:6400                            // 000000007010: D86C1900 11000004
	ds_read_b32 v18, v4 offset:6656                            // 000000007018: D86C1A00 12000004
	ds_read_b32 v19, v4 offset:6912                            // 000000007020: D86C1B00 13000004
	s_waitcnt lgkmcnt(3)                                       // 000000007028: BF8CC37F
	buffer_atomic_pk_add_bf16 v16, v244, s[4:7], 0 offen       // 00000000702C: E1481000 800110F4
	v_add_u32_e64 v244, v244, s36                              // 000000007034: D13400F4 000049F4
	s_waitcnt lgkmcnt(2)                                       // 00000000703C: BF8CC27F
	buffer_atomic_pk_add_bf16 v17, v244, s[4:7], 0 offen       // 000000007040: E1481000 800111F4
	v_add_u32_e64 v244, v244, s36                              // 000000007048: D13400F4 000049F4
	s_waitcnt lgkmcnt(1)                                       // 000000007050: BF8CC17F
	buffer_atomic_pk_add_bf16 v18, v244, s[4:7], 0 offen       // 000000007054: E1481000 800112F4
	v_add_u32_e64 v244, v244, s36                              // 00000000705C: D13400F4 000049F4
	s_waitcnt lgkmcnt(0)                                       // 000000007064: BF8CC07F
	buffer_atomic_pk_add_bf16 v19, v244, s[4:7], 0 offen       // 000000007068: E1481000 800113F4
	v_add_u32_e64 v244, v244, s36                              // 000000007070: D13400F4 000049F4
	s_mul_i32 s63, s36, 28                                     // 000000007078: 923F9C24
	v_add_u32_e32 v244, s63, v240                              // 00000000707C: 69E9E03F
	ds_read_b32 v16, v4 offset:7168                            // 000000007080: D86C1C00 10000004
	ds_read_b32 v17, v4 offset:7424                            // 000000007088: D86C1D00 11000004
	ds_read_b32 v18, v4 offset:7680                            // 000000007090: D86C1E00 12000004
	ds_read_b32 v19, v4 offset:7936                            // 000000007098: D86C1F00 13000004
	s_waitcnt lgkmcnt(3)                                       // 0000000070A0: BF8CC37F
	buffer_atomic_pk_add_bf16 v16, v244, s[4:7], 0 offen       // 0000000070A4: E1481000 800110F4
	v_add_u32_e64 v244, v244, s36                              // 0000000070AC: D13400F4 000049F4
	s_waitcnt lgkmcnt(2)                                       // 0000000070B4: BF8CC27F
	buffer_atomic_pk_add_bf16 v17, v244, s[4:7], 0 offen       // 0000000070B8: E1481000 800111F4
	v_add_u32_e64 v244, v244, s36                              // 0000000070C0: D13400F4 000049F4
	s_waitcnt lgkmcnt(1)                                       // 0000000070C8: BF8CC17F
	buffer_atomic_pk_add_bf16 v18, v244, s[4:7], 0 offen       // 0000000070CC: E1481000 800112F4
	v_add_u32_e64 v244, v244, s36                              // 0000000070D4: D13400F4 000049F4
	s_waitcnt lgkmcnt(0)                                       // 0000000070DC: BF8CC07F
	buffer_atomic_pk_add_bf16 v19, v244, s[4:7], 0 offen       // 0000000070E0: E1481000 800113F4
	v_add_u32_e64 v244, v244, s36                              // 0000000070E8: D13400F4 000049F4
	s_mul_i32 s63, s36, 32                                     // 0000000070F0: 923FA024
	v_add_u32_e32 v244, s63, v240                              // 0000000070F4: 69E9E03F
	ds_read_b32 v16, v4 offset:8192                            // 0000000070F8: D86C2000 10000004
	ds_read_b32 v17, v4 offset:8448                            // 000000007100: D86C2100 11000004
	ds_read_b32 v18, v4 offset:8704                            // 000000007108: D86C2200 12000004
	ds_read_b32 v19, v4 offset:8960                            // 000000007110: D86C2300 13000004
	s_waitcnt lgkmcnt(3)                                       // 000000007118: BF8CC37F
	buffer_atomic_pk_add_bf16 v16, v244, s[4:7], 0 offen       // 00000000711C: E1481000 800110F4
	v_add_u32_e64 v244, v244, s36                              // 000000007124: D13400F4 000049F4
	s_waitcnt lgkmcnt(2)                                       // 00000000712C: BF8CC27F
	buffer_atomic_pk_add_bf16 v17, v244, s[4:7], 0 offen       // 000000007130: E1481000 800111F4
	v_add_u32_e64 v244, v244, s36                              // 000000007138: D13400F4 000049F4
	s_waitcnt lgkmcnt(1)                                       // 000000007140: BF8CC17F
	buffer_atomic_pk_add_bf16 v18, v244, s[4:7], 0 offen       // 000000007144: E1481000 800112F4
	v_add_u32_e64 v244, v244, s36                              // 00000000714C: D13400F4 000049F4
	s_waitcnt lgkmcnt(0)                                       // 000000007154: BF8CC07F
	buffer_atomic_pk_add_bf16 v19, v244, s[4:7], 0 offen       // 000000007158: E1481000 800113F4
	v_add_u32_e64 v244, v244, s36                              // 000000007160: D13400F4 000049F4
	s_mul_i32 s63, s36, 36                                     // 000000007168: 923FA424
	v_add_u32_e32 v244, s63, v240                              // 00000000716C: 69E9E03F
	ds_read_b32 v16, v4 offset:9216                            // 000000007170: D86C2400 10000004
	ds_read_b32 v17, v4 offset:9472                            // 000000007178: D86C2500 11000004
	ds_read_b32 v18, v4 offset:9728                            // 000000007180: D86C2600 12000004
	ds_read_b32 v19, v4 offset:9984                            // 000000007188: D86C2700 13000004
	s_waitcnt lgkmcnt(3)                                       // 000000007190: BF8CC37F
	buffer_atomic_pk_add_bf16 v16, v244, s[4:7], 0 offen       // 000000007194: E1481000 800110F4
	v_add_u32_e64 v244, v244, s36                              // 00000000719C: D13400F4 000049F4
	s_waitcnt lgkmcnt(2)                                       // 0000000071A4: BF8CC27F
	buffer_atomic_pk_add_bf16 v17, v244, s[4:7], 0 offen       // 0000000071A8: E1481000 800111F4
	v_add_u32_e64 v244, v244, s36                              // 0000000071B0: D13400F4 000049F4
	s_waitcnt lgkmcnt(1)                                       // 0000000071B8: BF8CC17F
	buffer_atomic_pk_add_bf16 v18, v244, s[4:7], 0 offen       // 0000000071BC: E1481000 800112F4
	v_add_u32_e64 v244, v244, s36                              // 0000000071C4: D13400F4 000049F4
	s_waitcnt lgkmcnt(0)                                       // 0000000071CC: BF8CC07F
	buffer_atomic_pk_add_bf16 v19, v244, s[4:7], 0 offen       // 0000000071D0: E1481000 800113F4
	v_add_u32_e64 v244, v244, s36                              // 0000000071D8: D13400F4 000049F4
	s_mul_i32 s63, s36, 40                                     // 0000000071E0: 923FA824
	v_add_u32_e32 v244, s63, v240                              // 0000000071E4: 69E9E03F
	ds_read_b32 v16, v4 offset:10240                           // 0000000071E8: D86C2800 10000004
	ds_read_b32 v17, v4 offset:10496                           // 0000000071F0: D86C2900 11000004
	ds_read_b32 v18, v4 offset:10752                           // 0000000071F8: D86C2A00 12000004
	ds_read_b32 v19, v4 offset:11008                           // 000000007200: D86C2B00 13000004
	s_waitcnt lgkmcnt(3)                                       // 000000007208: BF8CC37F
	buffer_atomic_pk_add_bf16 v16, v244, s[4:7], 0 offen       // 00000000720C: E1481000 800110F4
	v_add_u32_e64 v244, v244, s36                              // 000000007214: D13400F4 000049F4
	s_waitcnt lgkmcnt(2)                                       // 00000000721C: BF8CC27F
	buffer_atomic_pk_add_bf16 v17, v244, s[4:7], 0 offen       // 000000007220: E1481000 800111F4
	v_add_u32_e64 v244, v244, s36                              // 000000007228: D13400F4 000049F4
	s_waitcnt lgkmcnt(1)                                       // 000000007230: BF8CC17F
	buffer_atomic_pk_add_bf16 v18, v244, s[4:7], 0 offen       // 000000007234: E1481000 800112F4
	v_add_u32_e64 v244, v244, s36                              // 00000000723C: D13400F4 000049F4
	s_waitcnt lgkmcnt(0)                                       // 000000007244: BF8CC07F
	buffer_atomic_pk_add_bf16 v19, v244, s[4:7], 0 offen       // 000000007248: E1481000 800113F4
	v_add_u32_e64 v244, v244, s36                              // 000000007250: D13400F4 000049F4
	s_mul_i32 s63, s36, 44                                     // 000000007258: 923FAC24
	v_add_u32_e32 v244, s63, v240                              // 00000000725C: 69E9E03F
	ds_read_b32 v16, v4 offset:11264                           // 000000007260: D86C2C00 10000004
	ds_read_b32 v17, v4 offset:11520                           // 000000007268: D86C2D00 11000004
	ds_read_b32 v18, v4 offset:11776                           // 000000007270: D86C2E00 12000004
	ds_read_b32 v19, v4 offset:12032                           // 000000007278: D86C2F00 13000004
	s_waitcnt lgkmcnt(3)                                       // 000000007280: BF8CC37F
	buffer_atomic_pk_add_bf16 v16, v244, s[4:7], 0 offen       // 000000007284: E1481000 800110F4
	v_add_u32_e64 v244, v244, s36                              // 00000000728C: D13400F4 000049F4
	s_waitcnt lgkmcnt(2)                                       // 000000007294: BF8CC27F
	buffer_atomic_pk_add_bf16 v17, v244, s[4:7], 0 offen       // 000000007298: E1481000 800111F4
	v_add_u32_e64 v244, v244, s36                              // 0000000072A0: D13400F4 000049F4
	s_waitcnt lgkmcnt(1)                                       // 0000000072A8: BF8CC17F
	buffer_atomic_pk_add_bf16 v18, v244, s[4:7], 0 offen       // 0000000072AC: E1481000 800112F4
	v_add_u32_e64 v244, v244, s36                              // 0000000072B4: D13400F4 000049F4
	s_waitcnt lgkmcnt(0)                                       // 0000000072BC: BF8CC07F
	buffer_atomic_pk_add_bf16 v19, v244, s[4:7], 0 offen       // 0000000072C0: E1481000 800113F4
	v_add_u32_e64 v244, v244, s36                              // 0000000072C8: D13400F4 000049F4
	s_mul_i32 s63, s36, 48                                     // 0000000072D0: 923FB024
	v_add_u32_e32 v244, s63, v240                              // 0000000072D4: 69E9E03F
	ds_read_b32 v16, v4 offset:12288                           // 0000000072D8: D86C3000 10000004
	ds_read_b32 v17, v4 offset:12544                           // 0000000072E0: D86C3100 11000004
	ds_read_b32 v18, v4 offset:12800                           // 0000000072E8: D86C3200 12000004
	ds_read_b32 v19, v4 offset:13056                           // 0000000072F0: D86C3300 13000004
	s_waitcnt lgkmcnt(3)                                       // 0000000072F8: BF8CC37F
	buffer_atomic_pk_add_bf16 v16, v244, s[4:7], 0 offen       // 0000000072FC: E1481000 800110F4
	v_add_u32_e64 v244, v244, s36                              // 000000007304: D13400F4 000049F4
	s_waitcnt lgkmcnt(2)                                       // 00000000730C: BF8CC27F
	buffer_atomic_pk_add_bf16 v17, v244, s[4:7], 0 offen       // 000000007310: E1481000 800111F4
	v_add_u32_e64 v244, v244, s36                              // 000000007318: D13400F4 000049F4
	s_waitcnt lgkmcnt(1)                                       // 000000007320: BF8CC17F
	buffer_atomic_pk_add_bf16 v18, v244, s[4:7], 0 offen       // 000000007324: E1481000 800112F4
	v_add_u32_e64 v244, v244, s36                              // 00000000732C: D13400F4 000049F4
	s_waitcnt lgkmcnt(0)                                       // 000000007334: BF8CC07F
	buffer_atomic_pk_add_bf16 v19, v244, s[4:7], 0 offen       // 000000007338: E1481000 800113F4
	v_add_u32_e64 v244, v244, s36                              // 000000007340: D13400F4 000049F4
	s_mul_i32 s63, s36, 52                                     // 000000007348: 923FB424
	v_add_u32_e32 v244, s63, v240                              // 00000000734C: 69E9E03F
	ds_read_b32 v16, v4 offset:13312                           // 000000007350: D86C3400 10000004
	ds_read_b32 v17, v4 offset:13568                           // 000000007358: D86C3500 11000004
	ds_read_b32 v18, v4 offset:13824                           // 000000007360: D86C3600 12000004
	ds_read_b32 v19, v4 offset:14080                           // 000000007368: D86C3700 13000004
	s_waitcnt lgkmcnt(3)                                       // 000000007370: BF8CC37F
	buffer_atomic_pk_add_bf16 v16, v244, s[4:7], 0 offen       // 000000007374: E1481000 800110F4
	v_add_u32_e64 v244, v244, s36                              // 00000000737C: D13400F4 000049F4
	s_waitcnt lgkmcnt(2)                                       // 000000007384: BF8CC27F
	buffer_atomic_pk_add_bf16 v17, v244, s[4:7], 0 offen       // 000000007388: E1481000 800111F4
	v_add_u32_e64 v244, v244, s36                              // 000000007390: D13400F4 000049F4
	s_waitcnt lgkmcnt(1)                                       // 000000007398: BF8CC17F
	buffer_atomic_pk_add_bf16 v18, v244, s[4:7], 0 offen       // 00000000739C: E1481000 800112F4
	v_add_u32_e64 v244, v244, s36                              // 0000000073A4: D13400F4 000049F4
	s_waitcnt lgkmcnt(0)                                       // 0000000073AC: BF8CC07F
	buffer_atomic_pk_add_bf16 v19, v244, s[4:7], 0 offen       // 0000000073B0: E1481000 800113F4
	v_add_u32_e64 v244, v244, s36                              // 0000000073B8: D13400F4 000049F4
	s_mul_i32 s63, s36, 56                                     // 0000000073C0: 923FB824
	v_add_u32_e32 v244, s63, v240                              // 0000000073C4: 69E9E03F
	ds_read_b32 v16, v4 offset:14336                           // 0000000073C8: D86C3800 10000004
	ds_read_b32 v17, v4 offset:14592                           // 0000000073D0: D86C3900 11000004
	ds_read_b32 v18, v4 offset:14848                           // 0000000073D8: D86C3A00 12000004
	ds_read_b32 v19, v4 offset:15104                           // 0000000073E0: D86C3B00 13000004
	s_waitcnt lgkmcnt(3)                                       // 0000000073E8: BF8CC37F
	buffer_atomic_pk_add_bf16 v16, v244, s[4:7], 0 offen       // 0000000073EC: E1481000 800110F4
	v_add_u32_e64 v244, v244, s36                              // 0000000073F4: D13400F4 000049F4
	s_waitcnt lgkmcnt(2)                                       // 0000000073FC: BF8CC27F
	buffer_atomic_pk_add_bf16 v17, v244, s[4:7], 0 offen       // 000000007400: E1481000 800111F4
	v_add_u32_e64 v244, v244, s36                              // 000000007408: D13400F4 000049F4
	s_waitcnt lgkmcnt(1)                                       // 000000007410: BF8CC17F
	buffer_atomic_pk_add_bf16 v18, v244, s[4:7], 0 offen       // 000000007414: E1481000 800112F4
	v_add_u32_e64 v244, v244, s36                              // 00000000741C: D13400F4 000049F4
	s_waitcnt lgkmcnt(0)                                       // 000000007424: BF8CC07F
	buffer_atomic_pk_add_bf16 v19, v244, s[4:7], 0 offen       // 000000007428: E1481000 800113F4
	v_add_u32_e64 v244, v244, s36                              // 000000007430: D13400F4 000049F4
	s_mul_i32 s63, s36, 60                                     // 000000007438: 923FBC24
	v_add_u32_e32 v244, s63, v240                              // 00000000743C: 69E9E03F
	ds_read_b32 v16, v4 offset:15360                           // 000000007440: D86C3C00 10000004
	ds_read_b32 v17, v4 offset:15616                           // 000000007448: D86C3D00 11000004
	ds_read_b32 v18, v4 offset:15872                           // 000000007450: D86C3E00 12000004
	ds_read_b32 v19, v4 offset:16128                           // 000000007458: D86C3F00 13000004
	s_waitcnt lgkmcnt(3)                                       // 000000007460: BF8CC37F
	buffer_atomic_pk_add_bf16 v16, v244, s[4:7], 0 offen       // 000000007464: E1481000 800110F4
	v_add_u32_e64 v244, v244, s36                              // 00000000746C: D13400F4 000049F4
	s_waitcnt lgkmcnt(2)                                       // 000000007474: BF8CC27F
	buffer_atomic_pk_add_bf16 v17, v244, s[4:7], 0 offen       // 000000007478: E1481000 800111F4
	v_add_u32_e64 v244, v244, s36                              // 000000007480: D13400F4 000049F4
	s_waitcnt lgkmcnt(1)                                       // 000000007488: BF8CC17F
	buffer_atomic_pk_add_bf16 v18, v244, s[4:7], 0 offen       // 00000000748C: E1481000 800112F4
	v_add_u32_e64 v244, v244, s36                              // 000000007494: D13400F4 000049F4
	s_waitcnt lgkmcnt(0)                                       // 00000000749C: BF8CC07F
	buffer_atomic_pk_add_bf16 v19, v244, s[4:7], 0 offen       // 0000000074A0: E1481000 800113F4
	v_add_u32_e64 v244, v244, s36                              // 0000000074A8: D13400F4 000049F4
	v_lshrrev_b32_e32 v4, 4, v0                                // 0000000074B0: 20080084
	v_mul_i32_i24_e64 v4, v4, 8                                // 0000000074B4: D1060004 00011104
	v_and_b32_e64 v5, v0, 15                                   // 0000000074BC: D1130005 00011F00
	v_lshlrev_b32_e32 v5, 8, v5                                // 0000000074C4: 240A0A88
	v_add_i32 v4, v4, v5                                       // 0000000074C8: D29C0004 00020B04
	s_mul_i32 s62, s46, 0x4000                                 // 0000000074D0: 923EFF2E 00004000
	s_add_i32 s62, s62, 0                                      // 0000000074D8: 813E803E
	v_add_i32 v4, v4, s62                                      // 0000000074DC: D29C0004 00007D04
	v_accvgpr_read_b32 v8, a128                                // 0000000074E4: D3D84008 18000180
	v_mul_f32_e32 v8, s41, v8                                  // 0000000074EC: 0A101029
	v_accvgpr_read_b32 v9, a129                                // 0000000074F0: D3D84009 18000181
	v_mul_f32_e32 v9, s41, v9                                  // 0000000074F8: 0A121229
	v_accvgpr_read_b32 v10, a130                               // 0000000074FC: D3D8400A 18000182
	v_mul_f32_e32 v10, s41, v10                                // 000000007504: 0A141429
	v_accvgpr_read_b32 v11, a131                               // 000000007508: D3D8400B 18000183
	v_mul_f32_e32 v11, s41, v11                                // 000000007510: 0A161629
	v_accvgpr_read_b32 v12, a144                               // 000000007514: D3D8400C 18000190
	v_mul_f32_e32 v12, s41, v12                                // 00000000751C: 0A181829
	v_accvgpr_read_b32 v13, a145                               // 000000007520: D3D8400D 18000191
	v_mul_f32_e32 v13, s41, v13                                // 000000007528: 0A1A1A29
	v_accvgpr_read_b32 v14, a146                               // 00000000752C: D3D8400E 18000192
	v_mul_f32_e32 v14, s41, v14                                // 000000007534: 0A1C1C29
	v_accvgpr_read_b32 v15, a147                               // 000000007538: D3D8400F 18000193
	v_mul_f32_e32 v15, s41, v15                                // 000000007540: 0A1E1E29
	v_cvt_pk_bf16_f32 v16, v8, v9                              // 000000007544: D2680010 00021308
	v_cvt_pk_bf16_f32 v17, v10, v11                            // 00000000754C: D2680011 0002170A
	v_cvt_pk_bf16_f32 v18, v12, v13                            // 000000007554: D2680012 00021B0C
	v_cvt_pk_bf16_f32 v19, v14, v15                            // 00000000755C: D2680013 00021F0E
	ds_write_b64 v4, v[16:17]                                  // 000000007564: D89A0000 00001004
	ds_write_b64 v4, v[18:19] offset:32                        // 00000000756C: D89A0020 00001204
	v_accvgpr_read_b32 v8, a160                                // 000000007574: D3D84008 180001A0
	v_mul_f32_e32 v8, s41, v8                                  // 00000000757C: 0A101029
	v_accvgpr_read_b32 v9, a161                                // 000000007580: D3D84009 180001A1
	v_mul_f32_e32 v9, s41, v9                                  // 000000007588: 0A121229
	v_accvgpr_read_b32 v10, a162                               // 00000000758C: D3D8400A 180001A2
	v_mul_f32_e32 v10, s41, v10                                // 000000007594: 0A141429
	v_accvgpr_read_b32 v11, a163                               // 000000007598: D3D8400B 180001A3
	v_mul_f32_e32 v11, s41, v11                                // 0000000075A0: 0A161629
	v_accvgpr_read_b32 v12, a176                               // 0000000075A4: D3D8400C 180001B0
	v_mul_f32_e32 v12, s41, v12                                // 0000000075AC: 0A181829
	v_accvgpr_read_b32 v13, a177                               // 0000000075B0: D3D8400D 180001B1
	v_mul_f32_e32 v13, s41, v13                                // 0000000075B8: 0A1A1A29
	v_accvgpr_read_b32 v14, a178                               // 0000000075BC: D3D8400E 180001B2
	v_mul_f32_e32 v14, s41, v14                                // 0000000075C4: 0A1C1C29
	v_accvgpr_read_b32 v15, a179                               // 0000000075C8: D3D8400F 180001B3
	v_mul_f32_e32 v15, s41, v15                                // 0000000075D0: 0A1E1E29
	v_cvt_pk_bf16_f32 v16, v8, v9                              // 0000000075D4: D2680010 00021308
	v_cvt_pk_bf16_f32 v17, v10, v11                            // 0000000075DC: D2680011 0002170A
	v_cvt_pk_bf16_f32 v18, v12, v13                            // 0000000075E4: D2680012 00021B0C
	v_cvt_pk_bf16_f32 v19, v14, v15                            // 0000000075EC: D2680013 00021F0E
	ds_write_b64 v4, v[16:17] offset:64                        // 0000000075F4: D89A0040 00001004
	ds_write_b64 v4, v[18:19] offset:96                        // 0000000075FC: D89A0060 00001204
	v_accvgpr_read_b32 v8, a132                                // 000000007604: D3D84008 18000184
	v_mul_f32_e32 v8, s41, v8                                  // 00000000760C: 0A101029
	v_accvgpr_read_b32 v9, a133                                // 000000007610: D3D84009 18000185
	v_mul_f32_e32 v9, s41, v9                                  // 000000007618: 0A121229
	v_accvgpr_read_b32 v10, a134                               // 00000000761C: D3D8400A 18000186
	v_mul_f32_e32 v10, s41, v10                                // 000000007624: 0A141429
	v_accvgpr_read_b32 v11, a135                               // 000000007628: D3D8400B 18000187
	v_mul_f32_e32 v11, s41, v11                                // 000000007630: 0A161629
	v_accvgpr_read_b32 v12, a148                               // 000000007634: D3D8400C 18000194
	v_mul_f32_e32 v12, s41, v12                                // 00000000763C: 0A181829
	v_accvgpr_read_b32 v13, a149                               // 000000007640: D3D8400D 18000195
	v_mul_f32_e32 v13, s41, v13                                // 000000007648: 0A1A1A29
	v_accvgpr_read_b32 v14, a150                               // 00000000764C: D3D8400E 18000196
	v_mul_f32_e32 v14, s41, v14                                // 000000007654: 0A1C1C29
	v_accvgpr_read_b32 v15, a151                               // 000000007658: D3D8400F 18000197
	v_mul_f32_e32 v15, s41, v15                                // 000000007660: 0A1E1E29
	v_cvt_pk_bf16_f32 v16, v8, v9                              // 000000007664: D2680010 00021308
	v_cvt_pk_bf16_f32 v17, v10, v11                            // 00000000766C: D2680011 0002170A
	v_cvt_pk_bf16_f32 v18, v12, v13                            // 000000007674: D2680012 00021B0C
	v_cvt_pk_bf16_f32 v19, v14, v15                            // 00000000767C: D2680013 00021F0E
	ds_write_b64 v4, v[16:17] offset:4096                      // 000000007684: D89A1000 00001004
	ds_write_b64 v4, v[18:19] offset:4128                      // 00000000768C: D89A1020 00001204
	v_accvgpr_read_b32 v8, a164                                // 000000007694: D3D84008 180001A4
	v_mul_f32_e32 v8, s41, v8                                  // 00000000769C: 0A101029
	v_accvgpr_read_b32 v9, a165                                // 0000000076A0: D3D84009 180001A5
	v_mul_f32_e32 v9, s41, v9                                  // 0000000076A8: 0A121229
	v_accvgpr_read_b32 v10, a166                               // 0000000076AC: D3D8400A 180001A6
	v_mul_f32_e32 v10, s41, v10                                // 0000000076B4: 0A141429
	v_accvgpr_read_b32 v11, a167                               // 0000000076B8: D3D8400B 180001A7
	v_mul_f32_e32 v11, s41, v11                                // 0000000076C0: 0A161629
	v_accvgpr_read_b32 v12, a180                               // 0000000076C4: D3D8400C 180001B4
	v_mul_f32_e32 v12, s41, v12                                // 0000000076CC: 0A181829
	v_accvgpr_read_b32 v13, a181                               // 0000000076D0: D3D8400D 180001B5
	v_mul_f32_e32 v13, s41, v13                                // 0000000076D8: 0A1A1A29
	v_accvgpr_read_b32 v14, a182                               // 0000000076DC: D3D8400E 180001B6
	v_mul_f32_e32 v14, s41, v14                                // 0000000076E4: 0A1C1C29
	v_accvgpr_read_b32 v15, a183                               // 0000000076E8: D3D8400F 180001B7
	v_mul_f32_e32 v15, s41, v15                                // 0000000076F0: 0A1E1E29
	v_cvt_pk_bf16_f32 v16, v8, v9                              // 0000000076F4: D2680010 00021308
	v_cvt_pk_bf16_f32 v17, v10, v11                            // 0000000076FC: D2680011 0002170A
	v_cvt_pk_bf16_f32 v18, v12, v13                            // 000000007704: D2680012 00021B0C
	v_cvt_pk_bf16_f32 v19, v14, v15                            // 00000000770C: D2680013 00021F0E
	ds_write_b64 v4, v[16:17] offset:4160                      // 000000007714: D89A1040 00001004
	ds_write_b64 v4, v[18:19] offset:4192                      // 00000000771C: D89A1060 00001204
	v_accvgpr_read_b32 v8, a136                                // 000000007724: D3D84008 18000188
	v_mul_f32_e32 v8, s41, v8                                  // 00000000772C: 0A101029
	v_accvgpr_read_b32 v9, a137                                // 000000007730: D3D84009 18000189
	v_mul_f32_e32 v9, s41, v9                                  // 000000007738: 0A121229
	v_accvgpr_read_b32 v10, a138                               // 00000000773C: D3D8400A 1800018A
	v_mul_f32_e32 v10, s41, v10                                // 000000007744: 0A141429
	v_accvgpr_read_b32 v11, a139                               // 000000007748: D3D8400B 1800018B
	v_mul_f32_e32 v11, s41, v11                                // 000000007750: 0A161629
	v_accvgpr_read_b32 v12, a152                               // 000000007754: D3D8400C 18000198
	v_mul_f32_e32 v12, s41, v12                                // 00000000775C: 0A181829
	v_accvgpr_read_b32 v13, a153                               // 000000007760: D3D8400D 18000199
	v_mul_f32_e32 v13, s41, v13                                // 000000007768: 0A1A1A29
	v_accvgpr_read_b32 v14, a154                               // 00000000776C: D3D8400E 1800019A
	v_mul_f32_e32 v14, s41, v14                                // 000000007774: 0A1C1C29
	v_accvgpr_read_b32 v15, a155                               // 000000007778: D3D8400F 1800019B
	v_mul_f32_e32 v15, s41, v15                                // 000000007780: 0A1E1E29
	v_cvt_pk_bf16_f32 v16, v8, v9                              // 000000007784: D2680010 00021308
	v_cvt_pk_bf16_f32 v17, v10, v11                            // 00000000778C: D2680011 0002170A
	v_cvt_pk_bf16_f32 v18, v12, v13                            // 000000007794: D2680012 00021B0C
	v_cvt_pk_bf16_f32 v19, v14, v15                            // 00000000779C: D2680013 00021F0E
	ds_write_b64 v4, v[16:17] offset:8192                      // 0000000077A4: D89A2000 00001004
	ds_write_b64 v4, v[18:19] offset:8224                      // 0000000077AC: D89A2020 00001204
	v_accvgpr_read_b32 v8, a168                                // 0000000077B4: D3D84008 180001A8
	v_mul_f32_e32 v8, s41, v8                                  // 0000000077BC: 0A101029
	v_accvgpr_read_b32 v9, a169                                // 0000000077C0: D3D84009 180001A9
	v_mul_f32_e32 v9, s41, v9                                  // 0000000077C8: 0A121229
	v_accvgpr_read_b32 v10, a170                               // 0000000077CC: D3D8400A 180001AA
	v_mul_f32_e32 v10, s41, v10                                // 0000000077D4: 0A141429
	v_accvgpr_read_b32 v11, a171                               // 0000000077D8: D3D8400B 180001AB
	v_mul_f32_e32 v11, s41, v11                                // 0000000077E0: 0A161629
	v_accvgpr_read_b32 v12, a184                               // 0000000077E4: D3D8400C 180001B8
	v_mul_f32_e32 v12, s41, v12                                // 0000000077EC: 0A181829
	v_accvgpr_read_b32 v13, a185                               // 0000000077F0: D3D8400D 180001B9
	v_mul_f32_e32 v13, s41, v13                                // 0000000077F8: 0A1A1A29
	v_accvgpr_read_b32 v14, a186                               // 0000000077FC: D3D8400E 180001BA
	v_mul_f32_e32 v14, s41, v14                                // 000000007804: 0A1C1C29
	v_accvgpr_read_b32 v15, a187                               // 000000007808: D3D8400F 180001BB
	v_mul_f32_e32 v15, s41, v15                                // 000000007810: 0A1E1E29
	v_cvt_pk_bf16_f32 v16, v8, v9                              // 000000007814: D2680010 00021308
	v_cvt_pk_bf16_f32 v17, v10, v11                            // 00000000781C: D2680011 0002170A
	v_cvt_pk_bf16_f32 v18, v12, v13                            // 000000007824: D2680012 00021B0C
	v_cvt_pk_bf16_f32 v19, v14, v15                            // 00000000782C: D2680013 00021F0E
	ds_write_b64 v4, v[16:17] offset:8256                      // 000000007834: D89A2040 00001004
	ds_write_b64 v4, v[18:19] offset:8288                      // 00000000783C: D89A2060 00001204
	v_accvgpr_read_b32 v8, a140                                // 000000007844: D3D84008 1800018C
	v_mul_f32_e32 v8, s41, v8                                  // 00000000784C: 0A101029
	v_accvgpr_read_b32 v9, a141                                // 000000007850: D3D84009 1800018D
	v_mul_f32_e32 v9, s41, v9                                  // 000000007858: 0A121229
	v_accvgpr_read_b32 v10, a142                               // 00000000785C: D3D8400A 1800018E
	v_mul_f32_e32 v10, s41, v10                                // 000000007864: 0A141429
	v_accvgpr_read_b32 v11, a143                               // 000000007868: D3D8400B 1800018F
	v_mul_f32_e32 v11, s41, v11                                // 000000007870: 0A161629
	v_accvgpr_read_b32 v12, a156                               // 000000007874: D3D8400C 1800019C
	v_mul_f32_e32 v12, s41, v12                                // 00000000787C: 0A181829
	v_accvgpr_read_b32 v13, a157                               // 000000007880: D3D8400D 1800019D
	v_mul_f32_e32 v13, s41, v13                                // 000000007888: 0A1A1A29
	v_accvgpr_read_b32 v14, a158                               // 00000000788C: D3D8400E 1800019E
	v_mul_f32_e32 v14, s41, v14                                // 000000007894: 0A1C1C29
	v_accvgpr_read_b32 v15, a159                               // 000000007898: D3D8400F 1800019F
	v_mul_f32_e32 v15, s41, v15                                // 0000000078A0: 0A1E1E29
	v_cvt_pk_bf16_f32 v16, v8, v9                              // 0000000078A4: D2680010 00021308
	v_cvt_pk_bf16_f32 v17, v10, v11                            // 0000000078AC: D2680011 0002170A
	v_cvt_pk_bf16_f32 v18, v12, v13                            // 0000000078B4: D2680012 00021B0C
	v_cvt_pk_bf16_f32 v19, v14, v15                            // 0000000078BC: D2680013 00021F0E
	ds_write_b64 v4, v[16:17] offset:12288                     // 0000000078C4: D89A3000 00001004
	ds_write_b64 v4, v[18:19] offset:12320                     // 0000000078CC: D89A3020 00001204
	v_accvgpr_read_b32 v8, a172                                // 0000000078D4: D3D84008 180001AC
	v_mul_f32_e32 v8, s41, v8                                  // 0000000078DC: 0A101029
	v_accvgpr_read_b32 v9, a173                                // 0000000078E0: D3D84009 180001AD
	v_mul_f32_e32 v9, s41, v9                                  // 0000000078E8: 0A121229
	v_accvgpr_read_b32 v10, a174                               // 0000000078EC: D3D8400A 180001AE
	v_mul_f32_e32 v10, s41, v10                                // 0000000078F4: 0A141429
	v_accvgpr_read_b32 v11, a175                               // 0000000078F8: D3D8400B 180001AF
	v_mul_f32_e32 v11, s41, v11                                // 000000007900: 0A161629
	v_accvgpr_read_b32 v12, a188                               // 000000007904: D3D8400C 180001BC
	v_mul_f32_e32 v12, s41, v12                                // 00000000790C: 0A181829
	v_accvgpr_read_b32 v13, a189                               // 000000007910: D3D8400D 180001BD
	v_mul_f32_e32 v13, s41, v13                                // 000000007918: 0A1A1A29
	v_accvgpr_read_b32 v14, a190                               // 00000000791C: D3D8400E 180001BE
	v_mul_f32_e32 v14, s41, v14                                // 000000007924: 0A1C1C29
	v_accvgpr_read_b32 v15, a191                               // 000000007928: D3D8400F 180001BF
	v_mul_f32_e32 v15, s41, v15                                // 000000007930: 0A1E1E29
	v_cvt_pk_bf16_f32 v16, v8, v9                              // 000000007934: D2680010 00021308
	v_cvt_pk_bf16_f32 v17, v10, v11                            // 00000000793C: D2680011 0002170A
	v_cvt_pk_bf16_f32 v18, v12, v13                            // 000000007944: D2680012 00021B0C
	v_cvt_pk_bf16_f32 v19, v14, v15                            // 00000000794C: D2680013 00021F0E
	ds_write_b64 v4, v[16:17] offset:12352                     // 000000007954: D89A3040 00001004
	ds_write_b64 v4, v[18:19] offset:12384                     // 00000000795C: D89A3060 00001204
	v_accvgpr_read_b32 v8, a192                                // 000000007964: D3D84008 180001C0
	v_mul_f32_e32 v8, s41, v8                                  // 00000000796C: 0A101029
	v_accvgpr_read_b32 v9, a193                                // 000000007970: D3D84009 180001C1
	v_mul_f32_e32 v9, s41, v9                                  // 000000007978: 0A121229
	v_accvgpr_read_b32 v10, a194                               // 00000000797C: D3D8400A 180001C2
	v_mul_f32_e32 v10, s41, v10                                // 000000007984: 0A141429
	v_accvgpr_read_b32 v11, a195                               // 000000007988: D3D8400B 180001C3
	v_mul_f32_e32 v11, s41, v11                                // 000000007990: 0A161629
	v_accvgpr_read_b32 v12, a208                               // 000000007994: D3D8400C 180001D0
	v_mul_f32_e32 v12, s41, v12                                // 00000000799C: 0A181829
	v_accvgpr_read_b32 v13, a209                               // 0000000079A0: D3D8400D 180001D1
	v_mul_f32_e32 v13, s41, v13                                // 0000000079A8: 0A1A1A29
	v_accvgpr_read_b32 v14, a210                               // 0000000079AC: D3D8400E 180001D2
	v_mul_f32_e32 v14, s41, v14                                // 0000000079B4: 0A1C1C29
	v_accvgpr_read_b32 v15, a211                               // 0000000079B8: D3D8400F 180001D3
	v_mul_f32_e32 v15, s41, v15                                // 0000000079C0: 0A1E1E29
	v_cvt_pk_bf16_f32 v16, v8, v9                              // 0000000079C4: D2680010 00021308
	v_cvt_pk_bf16_f32 v17, v10, v11                            // 0000000079CC: D2680011 0002170A
	v_cvt_pk_bf16_f32 v18, v12, v13                            // 0000000079D4: D2680012 00021B0C
	v_cvt_pk_bf16_f32 v19, v14, v15                            // 0000000079DC: D2680013 00021F0E
	ds_write_b64 v4, v[16:17] offset:128                       // 0000000079E4: D89A0080 00001004
	ds_write_b64 v4, v[18:19] offset:160                       // 0000000079EC: D89A00A0 00001204
	v_accvgpr_read_b32 v8, a224                                // 0000000079F4: D3D84008 180001E0
	v_mul_f32_e32 v8, s41, v8                                  // 0000000079FC: 0A101029
	v_accvgpr_read_b32 v9, a225                                // 000000007A00: D3D84009 180001E1
	v_mul_f32_e32 v9, s41, v9                                  // 000000007A08: 0A121229
	v_accvgpr_read_b32 v10, a226                               // 000000007A0C: D3D8400A 180001E2
	v_mul_f32_e32 v10, s41, v10                                // 000000007A14: 0A141429
	v_accvgpr_read_b32 v11, a227                               // 000000007A18: D3D8400B 180001E3
	v_mul_f32_e32 v11, s41, v11                                // 000000007A20: 0A161629
	v_accvgpr_read_b32 v12, a240                               // 000000007A24: D3D8400C 180001F0
	v_mul_f32_e32 v12, s41, v12                                // 000000007A2C: 0A181829
	v_accvgpr_read_b32 v13, a241                               // 000000007A30: D3D8400D 180001F1
	v_mul_f32_e32 v13, s41, v13                                // 000000007A38: 0A1A1A29
	v_accvgpr_read_b32 v14, a242                               // 000000007A3C: D3D8400E 180001F2
	v_mul_f32_e32 v14, s41, v14                                // 000000007A44: 0A1C1C29
	v_accvgpr_read_b32 v15, a243                               // 000000007A48: D3D8400F 180001F3
	v_mul_f32_e32 v15, s41, v15                                // 000000007A50: 0A1E1E29
	v_cvt_pk_bf16_f32 v16, v8, v9                              // 000000007A54: D2680010 00021308
	v_cvt_pk_bf16_f32 v17, v10, v11                            // 000000007A5C: D2680011 0002170A
	v_cvt_pk_bf16_f32 v18, v12, v13                            // 000000007A64: D2680012 00021B0C
	v_cvt_pk_bf16_f32 v19, v14, v15                            // 000000007A6C: D2680013 00021F0E
	ds_write_b64 v4, v[16:17] offset:192                       // 000000007A74: D89A00C0 00001004
	ds_write_b64 v4, v[18:19] offset:224                       // 000000007A7C: D89A00E0 00001204
	v_accvgpr_read_b32 v8, a196                                // 000000007A84: D3D84008 180001C4
	v_mul_f32_e32 v8, s41, v8                                  // 000000007A8C: 0A101029
	v_accvgpr_read_b32 v9, a197                                // 000000007A90: D3D84009 180001C5
	v_mul_f32_e32 v9, s41, v9                                  // 000000007A98: 0A121229
	v_accvgpr_read_b32 v10, a198                               // 000000007A9C: D3D8400A 180001C6
	v_mul_f32_e32 v10, s41, v10                                // 000000007AA4: 0A141429
	v_accvgpr_read_b32 v11, a199                               // 000000007AA8: D3D8400B 180001C7
	v_mul_f32_e32 v11, s41, v11                                // 000000007AB0: 0A161629
	v_accvgpr_read_b32 v12, a212                               // 000000007AB4: D3D8400C 180001D4
	v_mul_f32_e32 v12, s41, v12                                // 000000007ABC: 0A181829
	v_accvgpr_read_b32 v13, a213                               // 000000007AC0: D3D8400D 180001D5
	v_mul_f32_e32 v13, s41, v13                                // 000000007AC8: 0A1A1A29
	v_accvgpr_read_b32 v14, a214                               // 000000007ACC: D3D8400E 180001D6
	v_mul_f32_e32 v14, s41, v14                                // 000000007AD4: 0A1C1C29
	v_accvgpr_read_b32 v15, a215                               // 000000007AD8: D3D8400F 180001D7
	v_mul_f32_e32 v15, s41, v15                                // 000000007AE0: 0A1E1E29
	v_cvt_pk_bf16_f32 v16, v8, v9                              // 000000007AE4: D2680010 00021308
	v_cvt_pk_bf16_f32 v17, v10, v11                            // 000000007AEC: D2680011 0002170A
	v_cvt_pk_bf16_f32 v18, v12, v13                            // 000000007AF4: D2680012 00021B0C
	v_cvt_pk_bf16_f32 v19, v14, v15                            // 000000007AFC: D2680013 00021F0E
	ds_write_b64 v4, v[16:17] offset:4224                      // 000000007B04: D89A1080 00001004
	ds_write_b64 v4, v[18:19] offset:4256                      // 000000007B0C: D89A10A0 00001204
	v_accvgpr_read_b32 v8, a228                                // 000000007B14: D3D84008 180001E4
	v_mul_f32_e32 v8, s41, v8                                  // 000000007B1C: 0A101029
	v_accvgpr_read_b32 v9, a229                                // 000000007B20: D3D84009 180001E5
	v_mul_f32_e32 v9, s41, v9                                  // 000000007B28: 0A121229
	v_accvgpr_read_b32 v10, a230                               // 000000007B2C: D3D8400A 180001E6
	v_mul_f32_e32 v10, s41, v10                                // 000000007B34: 0A141429
	v_accvgpr_read_b32 v11, a231                               // 000000007B38: D3D8400B 180001E7
	v_mul_f32_e32 v11, s41, v11                                // 000000007B40: 0A161629
	v_accvgpr_read_b32 v12, a244                               // 000000007B44: D3D8400C 180001F4
	v_mul_f32_e32 v12, s41, v12                                // 000000007B4C: 0A181829
	v_accvgpr_read_b32 v13, a245                               // 000000007B50: D3D8400D 180001F5
	v_mul_f32_e32 v13, s41, v13                                // 000000007B58: 0A1A1A29
	v_accvgpr_read_b32 v14, a246                               // 000000007B5C: D3D8400E 180001F6
	v_mul_f32_e32 v14, s41, v14                                // 000000007B64: 0A1C1C29
	v_accvgpr_read_b32 v15, a247                               // 000000007B68: D3D8400F 180001F7
	v_mul_f32_e32 v15, s41, v15                                // 000000007B70: 0A1E1E29
	v_cvt_pk_bf16_f32 v16, v8, v9                              // 000000007B74: D2680010 00021308
	v_cvt_pk_bf16_f32 v17, v10, v11                            // 000000007B7C: D2680011 0002170A
	v_cvt_pk_bf16_f32 v18, v12, v13                            // 000000007B84: D2680012 00021B0C
	v_cvt_pk_bf16_f32 v19, v14, v15                            // 000000007B8C: D2680013 00021F0E
	ds_write_b64 v4, v[16:17] offset:4288                      // 000000007B94: D89A10C0 00001004
	ds_write_b64 v4, v[18:19] offset:4320                      // 000000007B9C: D89A10E0 00001204
	v_accvgpr_read_b32 v8, a200                                // 000000007BA4: D3D84008 180001C8
	v_mul_f32_e32 v8, s41, v8                                  // 000000007BAC: 0A101029
	v_accvgpr_read_b32 v9, a201                                // 000000007BB0: D3D84009 180001C9
	v_mul_f32_e32 v9, s41, v9                                  // 000000007BB8: 0A121229
	v_accvgpr_read_b32 v10, a202                               // 000000007BBC: D3D8400A 180001CA
	v_mul_f32_e32 v10, s41, v10                                // 000000007BC4: 0A141429
	v_accvgpr_read_b32 v11, a203                               // 000000007BC8: D3D8400B 180001CB
	v_mul_f32_e32 v11, s41, v11                                // 000000007BD0: 0A161629
	v_accvgpr_read_b32 v12, a216                               // 000000007BD4: D3D8400C 180001D8
	v_mul_f32_e32 v12, s41, v12                                // 000000007BDC: 0A181829
	v_accvgpr_read_b32 v13, a217                               // 000000007BE0: D3D8400D 180001D9
	v_mul_f32_e32 v13, s41, v13                                // 000000007BE8: 0A1A1A29
	v_accvgpr_read_b32 v14, a218                               // 000000007BEC: D3D8400E 180001DA
	v_mul_f32_e32 v14, s41, v14                                // 000000007BF4: 0A1C1C29
	v_accvgpr_read_b32 v15, a219                               // 000000007BF8: D3D8400F 180001DB
	v_mul_f32_e32 v15, s41, v15                                // 000000007C00: 0A1E1E29
	v_cvt_pk_bf16_f32 v16, v8, v9                              // 000000007C04: D2680010 00021308
	v_cvt_pk_bf16_f32 v17, v10, v11                            // 000000007C0C: D2680011 0002170A
	v_cvt_pk_bf16_f32 v18, v12, v13                            // 000000007C14: D2680012 00021B0C
	v_cvt_pk_bf16_f32 v19, v14, v15                            // 000000007C1C: D2680013 00021F0E
	ds_write_b64 v4, v[16:17] offset:8320                      // 000000007C24: D89A2080 00001004
	ds_write_b64 v4, v[18:19] offset:8352                      // 000000007C2C: D89A20A0 00001204
	v_accvgpr_read_b32 v8, a232                                // 000000007C34: D3D84008 180001E8
	v_mul_f32_e32 v8, s41, v8                                  // 000000007C3C: 0A101029
	v_accvgpr_read_b32 v9, a233                                // 000000007C40: D3D84009 180001E9
	v_mul_f32_e32 v9, s41, v9                                  // 000000007C48: 0A121229
	v_accvgpr_read_b32 v10, a234                               // 000000007C4C: D3D8400A 180001EA
	v_mul_f32_e32 v10, s41, v10                                // 000000007C54: 0A141429
	v_accvgpr_read_b32 v11, a235                               // 000000007C58: D3D8400B 180001EB
	v_mul_f32_e32 v11, s41, v11                                // 000000007C60: 0A161629
	v_accvgpr_read_b32 v12, a248                               // 000000007C64: D3D8400C 180001F8
	v_mul_f32_e32 v12, s41, v12                                // 000000007C6C: 0A181829
	v_accvgpr_read_b32 v13, a249                               // 000000007C70: D3D8400D 180001F9
	v_mul_f32_e32 v13, s41, v13                                // 000000007C78: 0A1A1A29
	v_accvgpr_read_b32 v14, a250                               // 000000007C7C: D3D8400E 180001FA
	v_mul_f32_e32 v14, s41, v14                                // 000000007C84: 0A1C1C29
	v_accvgpr_read_b32 v15, a251                               // 000000007C88: D3D8400F 180001FB
	v_mul_f32_e32 v15, s41, v15                                // 000000007C90: 0A1E1E29
	v_cvt_pk_bf16_f32 v16, v8, v9                              // 000000007C94: D2680010 00021308
	v_cvt_pk_bf16_f32 v17, v10, v11                            // 000000007C9C: D2680011 0002170A
	v_cvt_pk_bf16_f32 v18, v12, v13                            // 000000007CA4: D2680012 00021B0C
	v_cvt_pk_bf16_f32 v19, v14, v15                            // 000000007CAC: D2680013 00021F0E
	ds_write_b64 v4, v[16:17] offset:8384                      // 000000007CB4: D89A20C0 00001004
	ds_write_b64 v4, v[18:19] offset:8416                      // 000000007CBC: D89A20E0 00001204
	v_accvgpr_read_b32 v8, a204                                // 000000007CC4: D3D84008 180001CC
	v_mul_f32_e32 v8, s41, v8                                  // 000000007CCC: 0A101029
	v_accvgpr_read_b32 v9, a205                                // 000000007CD0: D3D84009 180001CD
	v_mul_f32_e32 v9, s41, v9                                  // 000000007CD8: 0A121229
	v_accvgpr_read_b32 v10, a206                               // 000000007CDC: D3D8400A 180001CE
	v_mul_f32_e32 v10, s41, v10                                // 000000007CE4: 0A141429
	v_accvgpr_read_b32 v11, a207                               // 000000007CE8: D3D8400B 180001CF
	v_mul_f32_e32 v11, s41, v11                                // 000000007CF0: 0A161629
	v_accvgpr_read_b32 v12, a220                               // 000000007CF4: D3D8400C 180001DC
	v_mul_f32_e32 v12, s41, v12                                // 000000007CFC: 0A181829
	v_accvgpr_read_b32 v13, a221                               // 000000007D00: D3D8400D 180001DD
	v_mul_f32_e32 v13, s41, v13                                // 000000007D08: 0A1A1A29
	v_accvgpr_read_b32 v14, a222                               // 000000007D0C: D3D8400E 180001DE
	v_mul_f32_e32 v14, s41, v14                                // 000000007D14: 0A1C1C29
	v_accvgpr_read_b32 v15, a223                               // 000000007D18: D3D8400F 180001DF
	v_mul_f32_e32 v15, s41, v15                                // 000000007D20: 0A1E1E29
	v_cvt_pk_bf16_f32 v16, v8, v9                              // 000000007D24: D2680010 00021308
	v_cvt_pk_bf16_f32 v17, v10, v11                            // 000000007D2C: D2680011 0002170A
	v_cvt_pk_bf16_f32 v18, v12, v13                            // 000000007D34: D2680012 00021B0C
	v_cvt_pk_bf16_f32 v19, v14, v15                            // 000000007D3C: D2680013 00021F0E
	ds_write_b64 v4, v[16:17] offset:12416                     // 000000007D44: D89A3080 00001004
	ds_write_b64 v4, v[18:19] offset:12448                     // 000000007D4C: D89A30A0 00001204
	v_accvgpr_read_b32 v8, a236                                // 000000007D54: D3D84008 180001EC
	v_mul_f32_e32 v8, s41, v8                                  // 000000007D5C: 0A101029
	v_accvgpr_read_b32 v9, a237                                // 000000007D60: D3D84009 180001ED
	v_mul_f32_e32 v9, s41, v9                                  // 000000007D68: 0A121229
	v_accvgpr_read_b32 v10, a238                               // 000000007D6C: D3D8400A 180001EE
	v_mul_f32_e32 v10, s41, v10                                // 000000007D74: 0A141429
	v_accvgpr_read_b32 v11, a239                               // 000000007D78: D3D8400B 180001EF
	v_mul_f32_e32 v11, s41, v11                                // 000000007D80: 0A161629
	v_accvgpr_read_b32 v12, a252                               // 000000007D84: D3D8400C 180001FC
	v_mul_f32_e32 v12, s41, v12                                // 000000007D8C: 0A181829
	v_accvgpr_read_b32 v13, a253                               // 000000007D90: D3D8400D 180001FD
	v_mul_f32_e32 v13, s41, v13                                // 000000007D98: 0A1A1A29
	v_accvgpr_read_b32 v14, a254                               // 000000007D9C: D3D8400E 180001FE
	v_mul_f32_e32 v14, s41, v14                                // 000000007DA4: 0A1C1C29
	v_accvgpr_read_b32 v15, a255                               // 000000007DA8: D3D8400F 180001FF
	v_mul_f32_e32 v15, s41, v15                                // 000000007DB0: 0A1E1E29
	v_cvt_pk_bf16_f32 v16, v8, v9                              // 000000007DB4: D2680010 00021308
	v_cvt_pk_bf16_f32 v17, v10, v11                            // 000000007DBC: D2680011 0002170A
	v_cvt_pk_bf16_f32 v18, v12, v13                            // 000000007DC4: D2680012 00021B0C
	v_cvt_pk_bf16_f32 v19, v14, v15                            // 000000007DCC: D2680013 00021F0E
	ds_write_b64 v4, v[16:17] offset:12480                     // 000000007DD4: D89A30C0 00001004
	ds_write_b64 v4, v[18:19] offset:12512                     // 000000007DDC: D89A30E0 00001204
	s_waitcnt lgkmcnt(0)                                       // 000000007DE4: BF8CC07F
	v_mul_i32_i24_e64 v4, v0, 4                                // 000000007DE8: D1060004 00010900
	v_add_i32 v4, v4, s62                                      // 000000007DF0: D29C0004 00007D04
	s_mul_i32 s63, s36, 0                                      // 000000007DF8: 923F8024
	v_add_u32_e32 v244, s63, v242                              // 000000007DFC: 69E9E43F
	ds_read_b32 v16, v4                                        // 000000007E00: D86C0000 10000004
	ds_read_b32 v17, v4 offset:256                             // 000000007E08: D86C0100 11000004
	ds_read_b32 v18, v4 offset:512                             // 000000007E10: D86C0200 12000004
	ds_read_b32 v19, v4 offset:768                             // 000000007E18: D86C0300 13000004
	s_waitcnt lgkmcnt(3)                                       // 000000007E20: BF8CC37F
	buffer_atomic_pk_add_bf16 v16, v244, s[4:7], 0 offen       // 000000007E24: E1481000 800110F4
	v_add_u32_e64 v244, v244, s36                              // 000000007E2C: D13400F4 000049F4
	s_waitcnt lgkmcnt(2)                                       // 000000007E34: BF8CC27F
	buffer_atomic_pk_add_bf16 v17, v244, s[4:7], 0 offen       // 000000007E38: E1481000 800111F4
	v_add_u32_e64 v244, v244, s36                              // 000000007E40: D13400F4 000049F4
	s_waitcnt lgkmcnt(1)                                       // 000000007E48: BF8CC17F
	buffer_atomic_pk_add_bf16 v18, v244, s[4:7], 0 offen       // 000000007E4C: E1481000 800112F4
	v_add_u32_e64 v244, v244, s36                              // 000000007E54: D13400F4 000049F4
	s_waitcnt lgkmcnt(0)                                       // 000000007E5C: BF8CC07F
	buffer_atomic_pk_add_bf16 v19, v244, s[4:7], 0 offen       // 000000007E60: E1481000 800113F4
	v_add_u32_e64 v244, v244, s36                              // 000000007E68: D13400F4 000049F4
	s_mul_i32 s63, s36, 4                                      // 000000007E70: 923F8424
	v_add_u32_e32 v244, s63, v242                              // 000000007E74: 69E9E43F
	ds_read_b32 v16, v4 offset:1024                            // 000000007E78: D86C0400 10000004
	ds_read_b32 v17, v4 offset:1280                            // 000000007E80: D86C0500 11000004
	ds_read_b32 v18, v4 offset:1536                            // 000000007E88: D86C0600 12000004
	ds_read_b32 v19, v4 offset:1792                            // 000000007E90: D86C0700 13000004
	s_waitcnt lgkmcnt(3)                                       // 000000007E98: BF8CC37F
	buffer_atomic_pk_add_bf16 v16, v244, s[4:7], 0 offen       // 000000007E9C: E1481000 800110F4
	v_add_u32_e64 v244, v244, s36                              // 000000007EA4: D13400F4 000049F4
	s_waitcnt lgkmcnt(2)                                       // 000000007EAC: BF8CC27F
	buffer_atomic_pk_add_bf16 v17, v244, s[4:7], 0 offen       // 000000007EB0: E1481000 800111F4
	v_add_u32_e64 v244, v244, s36                              // 000000007EB8: D13400F4 000049F4
	s_waitcnt lgkmcnt(1)                                       // 000000007EC0: BF8CC17F
	buffer_atomic_pk_add_bf16 v18, v244, s[4:7], 0 offen       // 000000007EC4: E1481000 800112F4
	v_add_u32_e64 v244, v244, s36                              // 000000007ECC: D13400F4 000049F4
	s_waitcnt lgkmcnt(0)                                       // 000000007ED4: BF8CC07F
	buffer_atomic_pk_add_bf16 v19, v244, s[4:7], 0 offen       // 000000007ED8: E1481000 800113F4
	v_add_u32_e64 v244, v244, s36                              // 000000007EE0: D13400F4 000049F4
	s_mul_i32 s63, s36, 8                                      // 000000007EE8: 923F8824
	v_add_u32_e32 v244, s63, v242                              // 000000007EEC: 69E9E43F
	ds_read_b32 v16, v4 offset:2048                            // 000000007EF0: D86C0800 10000004
	ds_read_b32 v17, v4 offset:2304                            // 000000007EF8: D86C0900 11000004
	ds_read_b32 v18, v4 offset:2560                            // 000000007F00: D86C0A00 12000004
	ds_read_b32 v19, v4 offset:2816                            // 000000007F08: D86C0B00 13000004
	s_waitcnt lgkmcnt(3)                                       // 000000007F10: BF8CC37F
	buffer_atomic_pk_add_bf16 v16, v244, s[4:7], 0 offen       // 000000007F14: E1481000 800110F4
	v_add_u32_e64 v244, v244, s36                              // 000000007F1C: D13400F4 000049F4
	s_waitcnt lgkmcnt(2)                                       // 000000007F24: BF8CC27F
	buffer_atomic_pk_add_bf16 v17, v244, s[4:7], 0 offen       // 000000007F28: E1481000 800111F4
	v_add_u32_e64 v244, v244, s36                              // 000000007F30: D13400F4 000049F4
	s_waitcnt lgkmcnt(1)                                       // 000000007F38: BF8CC17F
	buffer_atomic_pk_add_bf16 v18, v244, s[4:7], 0 offen       // 000000007F3C: E1481000 800112F4
	v_add_u32_e64 v244, v244, s36                              // 000000007F44: D13400F4 000049F4
	s_waitcnt lgkmcnt(0)                                       // 000000007F4C: BF8CC07F
	buffer_atomic_pk_add_bf16 v19, v244, s[4:7], 0 offen       // 000000007F50: E1481000 800113F4
	v_add_u32_e64 v244, v244, s36                              // 000000007F58: D13400F4 000049F4
	s_mul_i32 s63, s36, 12                                     // 000000007F60: 923F8C24
	v_add_u32_e32 v244, s63, v242                              // 000000007F64: 69E9E43F
	ds_read_b32 v16, v4 offset:3072                            // 000000007F68: D86C0C00 10000004
	ds_read_b32 v17, v4 offset:3328                            // 000000007F70: D86C0D00 11000004
	ds_read_b32 v18, v4 offset:3584                            // 000000007F78: D86C0E00 12000004
	ds_read_b32 v19, v4 offset:3840                            // 000000007F80: D86C0F00 13000004
	s_waitcnt lgkmcnt(3)                                       // 000000007F88: BF8CC37F
	buffer_atomic_pk_add_bf16 v16, v244, s[4:7], 0 offen       // 000000007F8C: E1481000 800110F4
	v_add_u32_e64 v244, v244, s36                              // 000000007F94: D13400F4 000049F4
	s_waitcnt lgkmcnt(2)                                       // 000000007F9C: BF8CC27F
	buffer_atomic_pk_add_bf16 v17, v244, s[4:7], 0 offen       // 000000007FA0: E1481000 800111F4
	v_add_u32_e64 v244, v244, s36                              // 000000007FA8: D13400F4 000049F4
	s_waitcnt lgkmcnt(1)                                       // 000000007FB0: BF8CC17F
	buffer_atomic_pk_add_bf16 v18, v244, s[4:7], 0 offen       // 000000007FB4: E1481000 800112F4
	v_add_u32_e64 v244, v244, s36                              // 000000007FBC: D13400F4 000049F4
	s_waitcnt lgkmcnt(0)                                       // 000000007FC4: BF8CC07F
	buffer_atomic_pk_add_bf16 v19, v244, s[4:7], 0 offen       // 000000007FC8: E1481000 800113F4
	v_add_u32_e64 v244, v244, s36                              // 000000007FD0: D13400F4 000049F4
	s_mul_i32 s63, s36, 16                                     // 000000007FD8: 923F9024
	v_add_u32_e32 v244, s63, v242                              // 000000007FDC: 69E9E43F
	ds_read_b32 v16, v4 offset:4096                            // 000000007FE0: D86C1000 10000004
	ds_read_b32 v17, v4 offset:4352                            // 000000007FE8: D86C1100 11000004
	ds_read_b32 v18, v4 offset:4608                            // 000000007FF0: D86C1200 12000004
	ds_read_b32 v19, v4 offset:4864                            // 000000007FF8: D86C1300 13000004
	s_waitcnt lgkmcnt(3)                                       // 000000008000: BF8CC37F
	buffer_atomic_pk_add_bf16 v16, v244, s[4:7], 0 offen       // 000000008004: E1481000 800110F4
	v_add_u32_e64 v244, v244, s36                              // 00000000800C: D13400F4 000049F4
	s_waitcnt lgkmcnt(2)                                       // 000000008014: BF8CC27F
	buffer_atomic_pk_add_bf16 v17, v244, s[4:7], 0 offen       // 000000008018: E1481000 800111F4
	v_add_u32_e64 v244, v244, s36                              // 000000008020: D13400F4 000049F4
	s_waitcnt lgkmcnt(1)                                       // 000000008028: BF8CC17F
	buffer_atomic_pk_add_bf16 v18, v244, s[4:7], 0 offen       // 00000000802C: E1481000 800112F4
	v_add_u32_e64 v244, v244, s36                              // 000000008034: D13400F4 000049F4
	s_waitcnt lgkmcnt(0)                                       // 00000000803C: BF8CC07F
	buffer_atomic_pk_add_bf16 v19, v244, s[4:7], 0 offen       // 000000008040: E1481000 800113F4
	v_add_u32_e64 v244, v244, s36                              // 000000008048: D13400F4 000049F4
	s_mul_i32 s63, s36, 20                                     // 000000008050: 923F9424
	v_add_u32_e32 v244, s63, v242                              // 000000008054: 69E9E43F
	ds_read_b32 v16, v4 offset:5120                            // 000000008058: D86C1400 10000004
	ds_read_b32 v17, v4 offset:5376                            // 000000008060: D86C1500 11000004
	ds_read_b32 v18, v4 offset:5632                            // 000000008068: D86C1600 12000004
	ds_read_b32 v19, v4 offset:5888                            // 000000008070: D86C1700 13000004
	s_waitcnt lgkmcnt(3)                                       // 000000008078: BF8CC37F
	buffer_atomic_pk_add_bf16 v16, v244, s[4:7], 0 offen       // 00000000807C: E1481000 800110F4
	v_add_u32_e64 v244, v244, s36                              // 000000008084: D13400F4 000049F4
	s_waitcnt lgkmcnt(2)                                       // 00000000808C: BF8CC27F
	buffer_atomic_pk_add_bf16 v17, v244, s[4:7], 0 offen       // 000000008090: E1481000 800111F4
	v_add_u32_e64 v244, v244, s36                              // 000000008098: D13400F4 000049F4
	s_waitcnt lgkmcnt(1)                                       // 0000000080A0: BF8CC17F
	buffer_atomic_pk_add_bf16 v18, v244, s[4:7], 0 offen       // 0000000080A4: E1481000 800112F4
	v_add_u32_e64 v244, v244, s36                              // 0000000080AC: D13400F4 000049F4
	s_waitcnt lgkmcnt(0)                                       // 0000000080B4: BF8CC07F
	buffer_atomic_pk_add_bf16 v19, v244, s[4:7], 0 offen       // 0000000080B8: E1481000 800113F4
	v_add_u32_e64 v244, v244, s36                              // 0000000080C0: D13400F4 000049F4
	s_mul_i32 s63, s36, 24                                     // 0000000080C8: 923F9824
	v_add_u32_e32 v244, s63, v242                              // 0000000080CC: 69E9E43F
	ds_read_b32 v16, v4 offset:6144                            // 0000000080D0: D86C1800 10000004
	ds_read_b32 v17, v4 offset:6400                            // 0000000080D8: D86C1900 11000004
	ds_read_b32 v18, v4 offset:6656                            // 0000000080E0: D86C1A00 12000004
	ds_read_b32 v19, v4 offset:6912                            // 0000000080E8: D86C1B00 13000004
	s_waitcnt lgkmcnt(3)                                       // 0000000080F0: BF8CC37F
	buffer_atomic_pk_add_bf16 v16, v244, s[4:7], 0 offen       // 0000000080F4: E1481000 800110F4
	v_add_u32_e64 v244, v244, s36                              // 0000000080FC: D13400F4 000049F4
	s_waitcnt lgkmcnt(2)                                       // 000000008104: BF8CC27F
	buffer_atomic_pk_add_bf16 v17, v244, s[4:7], 0 offen       // 000000008108: E1481000 800111F4
	v_add_u32_e64 v244, v244, s36                              // 000000008110: D13400F4 000049F4
	s_waitcnt lgkmcnt(1)                                       // 000000008118: BF8CC17F
	buffer_atomic_pk_add_bf16 v18, v244, s[4:7], 0 offen       // 00000000811C: E1481000 800112F4
	v_add_u32_e64 v244, v244, s36                              // 000000008124: D13400F4 000049F4
	s_waitcnt lgkmcnt(0)                                       // 00000000812C: BF8CC07F
	buffer_atomic_pk_add_bf16 v19, v244, s[4:7], 0 offen       // 000000008130: E1481000 800113F4
	v_add_u32_e64 v244, v244, s36                              // 000000008138: D13400F4 000049F4
	s_mul_i32 s63, s36, 28                                     // 000000008140: 923F9C24
	v_add_u32_e32 v244, s63, v242                              // 000000008144: 69E9E43F
	ds_read_b32 v16, v4 offset:7168                            // 000000008148: D86C1C00 10000004
	ds_read_b32 v17, v4 offset:7424                            // 000000008150: D86C1D00 11000004
	ds_read_b32 v18, v4 offset:7680                            // 000000008158: D86C1E00 12000004
	ds_read_b32 v19, v4 offset:7936                            // 000000008160: D86C1F00 13000004
	s_waitcnt lgkmcnt(3)                                       // 000000008168: BF8CC37F
	buffer_atomic_pk_add_bf16 v16, v244, s[4:7], 0 offen       // 00000000816C: E1481000 800110F4
	v_add_u32_e64 v244, v244, s36                              // 000000008174: D13400F4 000049F4
	s_waitcnt lgkmcnt(2)                                       // 00000000817C: BF8CC27F
	buffer_atomic_pk_add_bf16 v17, v244, s[4:7], 0 offen       // 000000008180: E1481000 800111F4
	v_add_u32_e64 v244, v244, s36                              // 000000008188: D13400F4 000049F4
	s_waitcnt lgkmcnt(1)                                       // 000000008190: BF8CC17F
	buffer_atomic_pk_add_bf16 v18, v244, s[4:7], 0 offen       // 000000008194: E1481000 800112F4
	v_add_u32_e64 v244, v244, s36                              // 00000000819C: D13400F4 000049F4
	s_waitcnt lgkmcnt(0)                                       // 0000000081A4: BF8CC07F
	buffer_atomic_pk_add_bf16 v19, v244, s[4:7], 0 offen       // 0000000081A8: E1481000 800113F4
	v_add_u32_e64 v244, v244, s36                              // 0000000081B0: D13400F4 000049F4
	s_mul_i32 s63, s36, 32                                     // 0000000081B8: 923FA024
	v_add_u32_e32 v244, s63, v242                              // 0000000081BC: 69E9E43F
	ds_read_b32 v16, v4 offset:8192                            // 0000000081C0: D86C2000 10000004
	ds_read_b32 v17, v4 offset:8448                            // 0000000081C8: D86C2100 11000004
	ds_read_b32 v18, v4 offset:8704                            // 0000000081D0: D86C2200 12000004
	ds_read_b32 v19, v4 offset:8960                            // 0000000081D8: D86C2300 13000004
	s_waitcnt lgkmcnt(3)                                       // 0000000081E0: BF8CC37F
	buffer_atomic_pk_add_bf16 v16, v244, s[4:7], 0 offen       // 0000000081E4: E1481000 800110F4
	v_add_u32_e64 v244, v244, s36                              // 0000000081EC: D13400F4 000049F4
	s_waitcnt lgkmcnt(2)                                       // 0000000081F4: BF8CC27F
	buffer_atomic_pk_add_bf16 v17, v244, s[4:7], 0 offen       // 0000000081F8: E1481000 800111F4
	v_add_u32_e64 v244, v244, s36                              // 000000008200: D13400F4 000049F4
	s_waitcnt lgkmcnt(1)                                       // 000000008208: BF8CC17F
	buffer_atomic_pk_add_bf16 v18, v244, s[4:7], 0 offen       // 00000000820C: E1481000 800112F4
	v_add_u32_e64 v244, v244, s36                              // 000000008214: D13400F4 000049F4
	s_waitcnt lgkmcnt(0)                                       // 00000000821C: BF8CC07F
	buffer_atomic_pk_add_bf16 v19, v244, s[4:7], 0 offen       // 000000008220: E1481000 800113F4
	v_add_u32_e64 v244, v244, s36                              // 000000008228: D13400F4 000049F4
	s_mul_i32 s63, s36, 36                                     // 000000008230: 923FA424
	v_add_u32_e32 v244, s63, v242                              // 000000008234: 69E9E43F
	ds_read_b32 v16, v4 offset:9216                            // 000000008238: D86C2400 10000004
	ds_read_b32 v17, v4 offset:9472                            // 000000008240: D86C2500 11000004
	ds_read_b32 v18, v4 offset:9728                            // 000000008248: D86C2600 12000004
	ds_read_b32 v19, v4 offset:9984                            // 000000008250: D86C2700 13000004
	s_waitcnt lgkmcnt(3)                                       // 000000008258: BF8CC37F
	buffer_atomic_pk_add_bf16 v16, v244, s[4:7], 0 offen       // 00000000825C: E1481000 800110F4
	v_add_u32_e64 v244, v244, s36                              // 000000008264: D13400F4 000049F4
	s_waitcnt lgkmcnt(2)                                       // 00000000826C: BF8CC27F
	buffer_atomic_pk_add_bf16 v17, v244, s[4:7], 0 offen       // 000000008270: E1481000 800111F4
	v_add_u32_e64 v244, v244, s36                              // 000000008278: D13400F4 000049F4
	s_waitcnt lgkmcnt(1)                                       // 000000008280: BF8CC17F
	buffer_atomic_pk_add_bf16 v18, v244, s[4:7], 0 offen       // 000000008284: E1481000 800112F4
	v_add_u32_e64 v244, v244, s36                              // 00000000828C: D13400F4 000049F4
	s_waitcnt lgkmcnt(0)                                       // 000000008294: BF8CC07F
	buffer_atomic_pk_add_bf16 v19, v244, s[4:7], 0 offen       // 000000008298: E1481000 800113F4
	v_add_u32_e64 v244, v244, s36                              // 0000000082A0: D13400F4 000049F4
	s_mul_i32 s63, s36, 40                                     // 0000000082A8: 923FA824
	v_add_u32_e32 v244, s63, v242                              // 0000000082AC: 69E9E43F
	ds_read_b32 v16, v4 offset:10240                           // 0000000082B0: D86C2800 10000004
	ds_read_b32 v17, v4 offset:10496                           // 0000000082B8: D86C2900 11000004
	ds_read_b32 v18, v4 offset:10752                           // 0000000082C0: D86C2A00 12000004
	ds_read_b32 v19, v4 offset:11008                           // 0000000082C8: D86C2B00 13000004
	s_waitcnt lgkmcnt(3)                                       // 0000000082D0: BF8CC37F
	buffer_atomic_pk_add_bf16 v16, v244, s[4:7], 0 offen       // 0000000082D4: E1481000 800110F4
	v_add_u32_e64 v244, v244, s36                              // 0000000082DC: D13400F4 000049F4
	s_waitcnt lgkmcnt(2)                                       // 0000000082E4: BF8CC27F
	buffer_atomic_pk_add_bf16 v17, v244, s[4:7], 0 offen       // 0000000082E8: E1481000 800111F4
	v_add_u32_e64 v244, v244, s36                              // 0000000082F0: D13400F4 000049F4
	s_waitcnt lgkmcnt(1)                                       // 0000000082F8: BF8CC17F
	buffer_atomic_pk_add_bf16 v18, v244, s[4:7], 0 offen       // 0000000082FC: E1481000 800112F4
	v_add_u32_e64 v244, v244, s36                              // 000000008304: D13400F4 000049F4
	s_waitcnt lgkmcnt(0)                                       // 00000000830C: BF8CC07F
	buffer_atomic_pk_add_bf16 v19, v244, s[4:7], 0 offen       // 000000008310: E1481000 800113F4
	v_add_u32_e64 v244, v244, s36                              // 000000008318: D13400F4 000049F4
	s_mul_i32 s63, s36, 44                                     // 000000008320: 923FAC24
	v_add_u32_e32 v244, s63, v242                              // 000000008324: 69E9E43F
	ds_read_b32 v16, v4 offset:11264                           // 000000008328: D86C2C00 10000004
	ds_read_b32 v17, v4 offset:11520                           // 000000008330: D86C2D00 11000004
	ds_read_b32 v18, v4 offset:11776                           // 000000008338: D86C2E00 12000004
	ds_read_b32 v19, v4 offset:12032                           // 000000008340: D86C2F00 13000004
	s_waitcnt lgkmcnt(3)                                       // 000000008348: BF8CC37F
	buffer_atomic_pk_add_bf16 v16, v244, s[4:7], 0 offen       // 00000000834C: E1481000 800110F4
	v_add_u32_e64 v244, v244, s36                              // 000000008354: D13400F4 000049F4
	s_waitcnt lgkmcnt(2)                                       // 00000000835C: BF8CC27F
	buffer_atomic_pk_add_bf16 v17, v244, s[4:7], 0 offen       // 000000008360: E1481000 800111F4
	v_add_u32_e64 v244, v244, s36                              // 000000008368: D13400F4 000049F4
	s_waitcnt lgkmcnt(1)                                       // 000000008370: BF8CC17F
	buffer_atomic_pk_add_bf16 v18, v244, s[4:7], 0 offen       // 000000008374: E1481000 800112F4
	v_add_u32_e64 v244, v244, s36                              // 00000000837C: D13400F4 000049F4
	s_waitcnt lgkmcnt(0)                                       // 000000008384: BF8CC07F
	buffer_atomic_pk_add_bf16 v19, v244, s[4:7], 0 offen       // 000000008388: E1481000 800113F4
	v_add_u32_e64 v244, v244, s36                              // 000000008390: D13400F4 000049F4
	s_mul_i32 s63, s36, 48                                     // 000000008398: 923FB024
	v_add_u32_e32 v244, s63, v242                              // 00000000839C: 69E9E43F
	ds_read_b32 v16, v4 offset:12288                           // 0000000083A0: D86C3000 10000004
	ds_read_b32 v17, v4 offset:12544                           // 0000000083A8: D86C3100 11000004
	ds_read_b32 v18, v4 offset:12800                           // 0000000083B0: D86C3200 12000004
	ds_read_b32 v19, v4 offset:13056                           // 0000000083B8: D86C3300 13000004
	s_waitcnt lgkmcnt(3)                                       // 0000000083C0: BF8CC37F
	buffer_atomic_pk_add_bf16 v16, v244, s[4:7], 0 offen       // 0000000083C4: E1481000 800110F4
	v_add_u32_e64 v244, v244, s36                              // 0000000083CC: D13400F4 000049F4
	s_waitcnt lgkmcnt(2)                                       // 0000000083D4: BF8CC27F
	buffer_atomic_pk_add_bf16 v17, v244, s[4:7], 0 offen       // 0000000083D8: E1481000 800111F4
	v_add_u32_e64 v244, v244, s36                              // 0000000083E0: D13400F4 000049F4
	s_waitcnt lgkmcnt(1)                                       // 0000000083E8: BF8CC17F
	buffer_atomic_pk_add_bf16 v18, v244, s[4:7], 0 offen       // 0000000083EC: E1481000 800112F4
	v_add_u32_e64 v244, v244, s36                              // 0000000083F4: D13400F4 000049F4
	s_waitcnt lgkmcnt(0)                                       // 0000000083FC: BF8CC07F
	buffer_atomic_pk_add_bf16 v19, v244, s[4:7], 0 offen       // 000000008400: E1481000 800113F4
	v_add_u32_e64 v244, v244, s36                              // 000000008408: D13400F4 000049F4
	s_mul_i32 s63, s36, 52                                     // 000000008410: 923FB424
	v_add_u32_e32 v244, s63, v242                              // 000000008414: 69E9E43F
	ds_read_b32 v16, v4 offset:13312                           // 000000008418: D86C3400 10000004
	ds_read_b32 v17, v4 offset:13568                           // 000000008420: D86C3500 11000004
	ds_read_b32 v18, v4 offset:13824                           // 000000008428: D86C3600 12000004
	ds_read_b32 v19, v4 offset:14080                           // 000000008430: D86C3700 13000004
	s_waitcnt lgkmcnt(3)                                       // 000000008438: BF8CC37F
	buffer_atomic_pk_add_bf16 v16, v244, s[4:7], 0 offen       // 00000000843C: E1481000 800110F4
	v_add_u32_e64 v244, v244, s36                              // 000000008444: D13400F4 000049F4
	s_waitcnt lgkmcnt(2)                                       // 00000000844C: BF8CC27F
	buffer_atomic_pk_add_bf16 v17, v244, s[4:7], 0 offen       // 000000008450: E1481000 800111F4
	v_add_u32_e64 v244, v244, s36                              // 000000008458: D13400F4 000049F4
	s_waitcnt lgkmcnt(1)                                       // 000000008460: BF8CC17F
	buffer_atomic_pk_add_bf16 v18, v244, s[4:7], 0 offen       // 000000008464: E1481000 800112F4
	v_add_u32_e64 v244, v244, s36                              // 00000000846C: D13400F4 000049F4
	s_waitcnt lgkmcnt(0)                                       // 000000008474: BF8CC07F
	buffer_atomic_pk_add_bf16 v19, v244, s[4:7], 0 offen       // 000000008478: E1481000 800113F4
	v_add_u32_e64 v244, v244, s36                              // 000000008480: D13400F4 000049F4
	s_mul_i32 s63, s36, 56                                     // 000000008488: 923FB824
	v_add_u32_e32 v244, s63, v242                              // 00000000848C: 69E9E43F
	ds_read_b32 v16, v4 offset:14336                           // 000000008490: D86C3800 10000004
	ds_read_b32 v17, v4 offset:14592                           // 000000008498: D86C3900 11000004
	ds_read_b32 v18, v4 offset:14848                           // 0000000084A0: D86C3A00 12000004
	ds_read_b32 v19, v4 offset:15104                           // 0000000084A8: D86C3B00 13000004
	s_waitcnt lgkmcnt(3)                                       // 0000000084B0: BF8CC37F
	buffer_atomic_pk_add_bf16 v16, v244, s[4:7], 0 offen       // 0000000084B4: E1481000 800110F4
	v_add_u32_e64 v244, v244, s36                              // 0000000084BC: D13400F4 000049F4
	s_waitcnt lgkmcnt(2)                                       // 0000000084C4: BF8CC27F
	buffer_atomic_pk_add_bf16 v17, v244, s[4:7], 0 offen       // 0000000084C8: E1481000 800111F4
	v_add_u32_e64 v244, v244, s36                              // 0000000084D0: D13400F4 000049F4
	s_waitcnt lgkmcnt(1)                                       // 0000000084D8: BF8CC17F
	buffer_atomic_pk_add_bf16 v18, v244, s[4:7], 0 offen       // 0000000084DC: E1481000 800112F4
	v_add_u32_e64 v244, v244, s36                              // 0000000084E4: D13400F4 000049F4
	s_waitcnt lgkmcnt(0)                                       // 0000000084EC: BF8CC07F
	buffer_atomic_pk_add_bf16 v19, v244, s[4:7], 0 offen       // 0000000084F0: E1481000 800113F4
	v_add_u32_e64 v244, v244, s36                              // 0000000084F8: D13400F4 000049F4
	s_mul_i32 s63, s36, 60                                     // 000000008500: 923FBC24
	v_add_u32_e32 v244, s63, v242                              // 000000008504: 69E9E43F
	ds_read_b32 v16, v4 offset:15360                           // 000000008508: D86C3C00 10000004
	ds_read_b32 v17, v4 offset:15616                           // 000000008510: D86C3D00 11000004
	ds_read_b32 v18, v4 offset:15872                           // 000000008518: D86C3E00 12000004
	ds_read_b32 v19, v4 offset:16128                           // 000000008520: D86C3F00 13000004
	s_waitcnt lgkmcnt(3)                                       // 000000008528: BF8CC37F
	buffer_atomic_pk_add_bf16 v16, v244, s[4:7], 0 offen       // 00000000852C: E1481000 800110F4
	v_add_u32_e64 v244, v244, s36                              // 000000008534: D13400F4 000049F4
	s_waitcnt lgkmcnt(2)                                       // 00000000853C: BF8CC27F
	buffer_atomic_pk_add_bf16 v17, v244, s[4:7], 0 offen       // 000000008540: E1481000 800111F4
	v_add_u32_e64 v244, v244, s36                              // 000000008548: D13400F4 000049F4
	s_waitcnt lgkmcnt(1)                                       // 000000008550: BF8CC17F
	buffer_atomic_pk_add_bf16 v18, v244, s[4:7], 0 offen       // 000000008554: E1481000 800112F4
	v_add_u32_e64 v244, v244, s36                              // 00000000855C: D13400F4 000049F4
	s_waitcnt lgkmcnt(0)                                       // 000000008564: BF8CC07F
	buffer_atomic_pk_add_bf16 v19, v244, s[4:7], 0 offen       // 000000008568: E1481000 800113F4
	v_add_u32_e64 v244, v244, s36                              // 000000008570: D13400F4 000049F4
	s_branch label_1BA0                                        // 000000008578: BF820540

000000000000857c <label_1660>:
	s_mul_i32 s62, s36, 0                                      // 00000000857C: 923E8024
	v_add_u32_e32 v244, s62, v240                              // 000000008580: 69E9E03E
	v_accvgpr_read_b32 v8, a0                                  // 000000008584: D3D84008 18000100
	v_mul_f32_e32 v8, s41, v8                                  // 00000000858C: 0A101029
	v_accvgpr_read_b32 v9, a1                                  // 000000008590: D3D84009 18000101
	v_mul_f32_e32 v9, s41, v9                                  // 000000008598: 0A121229
	v_accvgpr_read_b32 v10, a2                                 // 00000000859C: D3D8400A 18000102
	v_mul_f32_e32 v10, s41, v10                                // 0000000085A4: 0A141429
	v_accvgpr_read_b32 v11, a3                                 // 0000000085A8: D3D8400B 18000103
	v_mul_f32_e32 v11, s41, v11                                // 0000000085B0: 0A161629
	v_accvgpr_read_b32 v12, a16                                // 0000000085B4: D3D8400C 18000110
	v_mul_f32_e32 v12, s41, v12                                // 0000000085BC: 0A181829
	v_accvgpr_read_b32 v13, a17                                // 0000000085C0: D3D8400D 18000111
	v_mul_f32_e32 v13, s41, v13                                // 0000000085C8: 0A1A1A29
	v_accvgpr_read_b32 v14, a18                                // 0000000085CC: D3D8400E 18000112
	v_mul_f32_e32 v14, s41, v14                                // 0000000085D4: 0A1C1C29
	v_accvgpr_read_b32 v15, a19                                // 0000000085D8: D3D8400F 18000113
	v_mul_f32_e32 v15, s41, v15                                // 0000000085E0: 0A1E1E29
	v_cvt_pk_bf16_f32 v16, v8, v9                              // 0000000085E4: D2680010 00021308
	v_cvt_pk_bf16_f32 v17, v10, v11                            // 0000000085EC: D2680011 0002170A
	v_cvt_pk_bf16_f32 v18, v12, v13                            // 0000000085F4: D2680012 00021B0C
	v_cvt_pk_bf16_f32 v19, v14, v15                            // 0000000085FC: D2680013 00021F0E
	s_nop 1                                                    // 000000008604: BF800001
	v_permlane16_swap_b32_e32 v16, v18                         // 000000008608: 7E20B312
	s_nop 1                                                    // 00000000860C: BF800001
	v_permlane16_swap_b32_e32 v17, v19                         // 000000008610: 7E22B313
	s_nop 1                                                    // 000000008614: BF800001
	buffer_store_dwordx4 v[16:19], v244, s[4:7], 0 offen       // 000000008618: E07C1000 800110F4
	v_add_i32 v244, v244, 64                                   // 000000008620: D29C00F4 000181F4
	v_accvgpr_read_b32 v8, a32                                 // 000000008628: D3D84008 18000120
	v_mul_f32_e32 v8, s41, v8                                  // 000000008630: 0A101029
	v_accvgpr_read_b32 v9, a33                                 // 000000008634: D3D84009 18000121
	v_mul_f32_e32 v9, s41, v9                                  // 00000000863C: 0A121229
	v_accvgpr_read_b32 v10, a34                                // 000000008640: D3D8400A 18000122
	v_mul_f32_e32 v10, s41, v10                                // 000000008648: 0A141429
	v_accvgpr_read_b32 v11, a35                                // 00000000864C: D3D8400B 18000123
	v_mul_f32_e32 v11, s41, v11                                // 000000008654: 0A161629
	v_accvgpr_read_b32 v12, a48                                // 000000008658: D3D8400C 18000130
	v_mul_f32_e32 v12, s41, v12                                // 000000008660: 0A181829
	v_accvgpr_read_b32 v13, a49                                // 000000008664: D3D8400D 18000131
	v_mul_f32_e32 v13, s41, v13                                // 00000000866C: 0A1A1A29
	v_accvgpr_read_b32 v14, a50                                // 000000008670: D3D8400E 18000132
	v_mul_f32_e32 v14, s41, v14                                // 000000008678: 0A1C1C29
	v_accvgpr_read_b32 v15, a51                                // 00000000867C: D3D8400F 18000133
	v_mul_f32_e32 v15, s41, v15                                // 000000008684: 0A1E1E29
	v_cvt_pk_bf16_f32 v16, v8, v9                              // 000000008688: D2680010 00021308
	v_cvt_pk_bf16_f32 v17, v10, v11                            // 000000008690: D2680011 0002170A
	v_cvt_pk_bf16_f32 v18, v12, v13                            // 000000008698: D2680012 00021B0C
	v_cvt_pk_bf16_f32 v19, v14, v15                            // 0000000086A0: D2680013 00021F0E
	s_nop 1                                                    // 0000000086A8: BF800001
	v_permlane16_swap_b32_e32 v16, v18                         // 0000000086AC: 7E20B312
	s_nop 1                                                    // 0000000086B0: BF800001
	v_permlane16_swap_b32_e32 v17, v19                         // 0000000086B4: 7E22B313
	s_nop 1                                                    // 0000000086B8: BF800001
	buffer_store_dwordx4 v[16:19], v244, s[4:7], 0 offen       // 0000000086BC: E07C1000 800110F4
	v_add_i32 v244, v244, 64                                   // 0000000086C4: D29C00F4 000181F4
	s_mul_i32 s62, s36, 16                                     // 0000000086CC: 923E9024
	v_add_u32_e32 v244, s62, v240                              // 0000000086D0: 69E9E03E
	v_accvgpr_read_b32 v8, a4                                  // 0000000086D4: D3D84008 18000104
	v_mul_f32_e32 v8, s41, v8                                  // 0000000086DC: 0A101029
	v_accvgpr_read_b32 v9, a5                                  // 0000000086E0: D3D84009 18000105
	v_mul_f32_e32 v9, s41, v9                                  // 0000000086E8: 0A121229
	v_accvgpr_read_b32 v10, a6                                 // 0000000086EC: D3D8400A 18000106
	v_mul_f32_e32 v10, s41, v10                                // 0000000086F4: 0A141429
	v_accvgpr_read_b32 v11, a7                                 // 0000000086F8: D3D8400B 18000107
	v_mul_f32_e32 v11, s41, v11                                // 000000008700: 0A161629
	v_accvgpr_read_b32 v12, a20                                // 000000008704: D3D8400C 18000114
	v_mul_f32_e32 v12, s41, v12                                // 00000000870C: 0A181829
	v_accvgpr_read_b32 v13, a21                                // 000000008710: D3D8400D 18000115
	v_mul_f32_e32 v13, s41, v13                                // 000000008718: 0A1A1A29
	v_accvgpr_read_b32 v14, a22                                // 00000000871C: D3D8400E 18000116
	v_mul_f32_e32 v14, s41, v14                                // 000000008724: 0A1C1C29
	v_accvgpr_read_b32 v15, a23                                // 000000008728: D3D8400F 18000117
	v_mul_f32_e32 v15, s41, v15                                // 000000008730: 0A1E1E29
	v_cvt_pk_bf16_f32 v16, v8, v9                              // 000000008734: D2680010 00021308
	v_cvt_pk_bf16_f32 v17, v10, v11                            // 00000000873C: D2680011 0002170A
	v_cvt_pk_bf16_f32 v18, v12, v13                            // 000000008744: D2680012 00021B0C
	v_cvt_pk_bf16_f32 v19, v14, v15                            // 00000000874C: D2680013 00021F0E
	s_nop 1                                                    // 000000008754: BF800001
	v_permlane16_swap_b32_e32 v16, v18                         // 000000008758: 7E20B312
	s_nop 1                                                    // 00000000875C: BF800001
	v_permlane16_swap_b32_e32 v17, v19                         // 000000008760: 7E22B313
	s_nop 1                                                    // 000000008764: BF800001
	buffer_store_dwordx4 v[16:19], v244, s[4:7], 0 offen       // 000000008768: E07C1000 800110F4
	v_add_i32 v244, v244, 64                                   // 000000008770: D29C00F4 000181F4
	v_accvgpr_read_b32 v8, a36                                 // 000000008778: D3D84008 18000124
	v_mul_f32_e32 v8, s41, v8                                  // 000000008780: 0A101029
	v_accvgpr_read_b32 v9, a37                                 // 000000008784: D3D84009 18000125
	v_mul_f32_e32 v9, s41, v9                                  // 00000000878C: 0A121229
	v_accvgpr_read_b32 v10, a38                                // 000000008790: D3D8400A 18000126
	v_mul_f32_e32 v10, s41, v10                                // 000000008798: 0A141429
	v_accvgpr_read_b32 v11, a39                                // 00000000879C: D3D8400B 18000127
	v_mul_f32_e32 v11, s41, v11                                // 0000000087A4: 0A161629
	v_accvgpr_read_b32 v12, a52                                // 0000000087A8: D3D8400C 18000134
	v_mul_f32_e32 v12, s41, v12                                // 0000000087B0: 0A181829
	v_accvgpr_read_b32 v13, a53                                // 0000000087B4: D3D8400D 18000135
	v_mul_f32_e32 v13, s41, v13                                // 0000000087BC: 0A1A1A29
	v_accvgpr_read_b32 v14, a54                                // 0000000087C0: D3D8400E 18000136
	v_mul_f32_e32 v14, s41, v14                                // 0000000087C8: 0A1C1C29
	v_accvgpr_read_b32 v15, a55                                // 0000000087CC: D3D8400F 18000137
	v_mul_f32_e32 v15, s41, v15                                // 0000000087D4: 0A1E1E29
	v_cvt_pk_bf16_f32 v16, v8, v9                              // 0000000087D8: D2680010 00021308
	v_cvt_pk_bf16_f32 v17, v10, v11                            // 0000000087E0: D2680011 0002170A
	v_cvt_pk_bf16_f32 v18, v12, v13                            // 0000000087E8: D2680012 00021B0C
	v_cvt_pk_bf16_f32 v19, v14, v15                            // 0000000087F0: D2680013 00021F0E
	s_nop 1                                                    // 0000000087F8: BF800001
	v_permlane16_swap_b32_e32 v16, v18                         // 0000000087FC: 7E20B312
	s_nop 1                                                    // 000000008800: BF800001
	v_permlane16_swap_b32_e32 v17, v19                         // 000000008804: 7E22B313
	s_nop 1                                                    // 000000008808: BF800001
	buffer_store_dwordx4 v[16:19], v244, s[4:7], 0 offen       // 00000000880C: E07C1000 800110F4
	v_add_i32 v244, v244, 64                                   // 000000008814: D29C00F4 000181F4
	s_mul_i32 s62, s36, 32                                     // 00000000881C: 923EA024
	v_add_u32_e32 v244, s62, v240                              // 000000008820: 69E9E03E
	v_accvgpr_read_b32 v8, a8                                  // 000000008824: D3D84008 18000108
	v_mul_f32_e32 v8, s41, v8                                  // 00000000882C: 0A101029
	v_accvgpr_read_b32 v9, a9                                  // 000000008830: D3D84009 18000109
	v_mul_f32_e32 v9, s41, v9                                  // 000000008838: 0A121229
	v_accvgpr_read_b32 v10, a10                                // 00000000883C: D3D8400A 1800010A
	v_mul_f32_e32 v10, s41, v10                                // 000000008844: 0A141429
	v_accvgpr_read_b32 v11, a11                                // 000000008848: D3D8400B 1800010B
	v_mul_f32_e32 v11, s41, v11                                // 000000008850: 0A161629
	v_accvgpr_read_b32 v12, a24                                // 000000008854: D3D8400C 18000118
	v_mul_f32_e32 v12, s41, v12                                // 00000000885C: 0A181829
	v_accvgpr_read_b32 v13, a25                                // 000000008860: D3D8400D 18000119
	v_mul_f32_e32 v13, s41, v13                                // 000000008868: 0A1A1A29
	v_accvgpr_read_b32 v14, a26                                // 00000000886C: D3D8400E 1800011A
	v_mul_f32_e32 v14, s41, v14                                // 000000008874: 0A1C1C29
	v_accvgpr_read_b32 v15, a27                                // 000000008878: D3D8400F 1800011B
	v_mul_f32_e32 v15, s41, v15                                // 000000008880: 0A1E1E29
	v_cvt_pk_bf16_f32 v16, v8, v9                              // 000000008884: D2680010 00021308
	v_cvt_pk_bf16_f32 v17, v10, v11                            // 00000000888C: D2680011 0002170A
	v_cvt_pk_bf16_f32 v18, v12, v13                            // 000000008894: D2680012 00021B0C
	v_cvt_pk_bf16_f32 v19, v14, v15                            // 00000000889C: D2680013 00021F0E
	s_nop 1                                                    // 0000000088A4: BF800001
	v_permlane16_swap_b32_e32 v16, v18                         // 0000000088A8: 7E20B312
	s_nop 1                                                    // 0000000088AC: BF800001
	v_permlane16_swap_b32_e32 v17, v19                         // 0000000088B0: 7E22B313
	s_nop 1                                                    // 0000000088B4: BF800001
	buffer_store_dwordx4 v[16:19], v244, s[4:7], 0 offen       // 0000000088B8: E07C1000 800110F4
	v_add_i32 v244, v244, 64                                   // 0000000088C0: D29C00F4 000181F4
	v_accvgpr_read_b32 v8, a40                                 // 0000000088C8: D3D84008 18000128
	v_mul_f32_e32 v8, s41, v8                                  // 0000000088D0: 0A101029
	v_accvgpr_read_b32 v9, a41                                 // 0000000088D4: D3D84009 18000129
	v_mul_f32_e32 v9, s41, v9                                  // 0000000088DC: 0A121229
	v_accvgpr_read_b32 v10, a42                                // 0000000088E0: D3D8400A 1800012A
	v_mul_f32_e32 v10, s41, v10                                // 0000000088E8: 0A141429
	v_accvgpr_read_b32 v11, a43                                // 0000000088EC: D3D8400B 1800012B
	v_mul_f32_e32 v11, s41, v11                                // 0000000088F4: 0A161629
	v_accvgpr_read_b32 v12, a56                                // 0000000088F8: D3D8400C 18000138
	v_mul_f32_e32 v12, s41, v12                                // 000000008900: 0A181829
	v_accvgpr_read_b32 v13, a57                                // 000000008904: D3D8400D 18000139
	v_mul_f32_e32 v13, s41, v13                                // 00000000890C: 0A1A1A29
	v_accvgpr_read_b32 v14, a58                                // 000000008910: D3D8400E 1800013A
	v_mul_f32_e32 v14, s41, v14                                // 000000008918: 0A1C1C29
	v_accvgpr_read_b32 v15, a59                                // 00000000891C: D3D8400F 1800013B
	v_mul_f32_e32 v15, s41, v15                                // 000000008924: 0A1E1E29
	v_cvt_pk_bf16_f32 v16, v8, v9                              // 000000008928: D2680010 00021308
	v_cvt_pk_bf16_f32 v17, v10, v11                            // 000000008930: D2680011 0002170A
	v_cvt_pk_bf16_f32 v18, v12, v13                            // 000000008938: D2680012 00021B0C
	v_cvt_pk_bf16_f32 v19, v14, v15                            // 000000008940: D2680013 00021F0E
	s_nop 1                                                    // 000000008948: BF800001
	v_permlane16_swap_b32_e32 v16, v18                         // 00000000894C: 7E20B312
	s_nop 1                                                    // 000000008950: BF800001
	v_permlane16_swap_b32_e32 v17, v19                         // 000000008954: 7E22B313
	s_nop 1                                                    // 000000008958: BF800001
	buffer_store_dwordx4 v[16:19], v244, s[4:7], 0 offen       // 00000000895C: E07C1000 800110F4
	v_add_i32 v244, v244, 64                                   // 000000008964: D29C00F4 000181F4
	s_mul_i32 s62, s36, 48                                     // 00000000896C: 923EB024
	v_add_u32_e32 v244, s62, v240                              // 000000008970: 69E9E03E
	v_accvgpr_read_b32 v8, a12                                 // 000000008974: D3D84008 1800010C
	v_mul_f32_e32 v8, s41, v8                                  // 00000000897C: 0A101029
	v_accvgpr_read_b32 v9, a13                                 // 000000008980: D3D84009 1800010D
	v_mul_f32_e32 v9, s41, v9                                  // 000000008988: 0A121229
	v_accvgpr_read_b32 v10, a14                                // 00000000898C: D3D8400A 1800010E
	v_mul_f32_e32 v10, s41, v10                                // 000000008994: 0A141429
	v_accvgpr_read_b32 v11, a15                                // 000000008998: D3D8400B 1800010F
	v_mul_f32_e32 v11, s41, v11                                // 0000000089A0: 0A161629
	v_accvgpr_read_b32 v12, a28                                // 0000000089A4: D3D8400C 1800011C
	v_mul_f32_e32 v12, s41, v12                                // 0000000089AC: 0A181829
	v_accvgpr_read_b32 v13, a29                                // 0000000089B0: D3D8400D 1800011D
	v_mul_f32_e32 v13, s41, v13                                // 0000000089B8: 0A1A1A29
	v_accvgpr_read_b32 v14, a30                                // 0000000089BC: D3D8400E 1800011E
	v_mul_f32_e32 v14, s41, v14                                // 0000000089C4: 0A1C1C29
	v_accvgpr_read_b32 v15, a31                                // 0000000089C8: D3D8400F 1800011F
	v_mul_f32_e32 v15, s41, v15                                // 0000000089D0: 0A1E1E29
	v_cvt_pk_bf16_f32 v16, v8, v9                              // 0000000089D4: D2680010 00021308
	v_cvt_pk_bf16_f32 v17, v10, v11                            // 0000000089DC: D2680011 0002170A
	v_cvt_pk_bf16_f32 v18, v12, v13                            // 0000000089E4: D2680012 00021B0C
	v_cvt_pk_bf16_f32 v19, v14, v15                            // 0000000089EC: D2680013 00021F0E
	s_nop 1                                                    // 0000000089F4: BF800001
	v_permlane16_swap_b32_e32 v16, v18                         // 0000000089F8: 7E20B312
	s_nop 1                                                    // 0000000089FC: BF800001
	v_permlane16_swap_b32_e32 v17, v19                         // 000000008A00: 7E22B313
	s_nop 1                                                    // 000000008A04: BF800001
	buffer_store_dwordx4 v[16:19], v244, s[4:7], 0 offen       // 000000008A08: E07C1000 800110F4
	v_add_i32 v244, v244, 64                                   // 000000008A10: D29C00F4 000181F4
	v_accvgpr_read_b32 v8, a44                                 // 000000008A18: D3D84008 1800012C
	v_mul_f32_e32 v8, s41, v8                                  // 000000008A20: 0A101029
	v_accvgpr_read_b32 v9, a45                                 // 000000008A24: D3D84009 1800012D
	v_mul_f32_e32 v9, s41, v9                                  // 000000008A2C: 0A121229
	v_accvgpr_read_b32 v10, a46                                // 000000008A30: D3D8400A 1800012E
	v_mul_f32_e32 v10, s41, v10                                // 000000008A38: 0A141429
	v_accvgpr_read_b32 v11, a47                                // 000000008A3C: D3D8400B 1800012F
	v_mul_f32_e32 v11, s41, v11                                // 000000008A44: 0A161629
	v_accvgpr_read_b32 v12, a60                                // 000000008A48: D3D8400C 1800013C
	v_mul_f32_e32 v12, s41, v12                                // 000000008A50: 0A181829
	v_accvgpr_read_b32 v13, a61                                // 000000008A54: D3D8400D 1800013D
	v_mul_f32_e32 v13, s41, v13                                // 000000008A5C: 0A1A1A29
	v_accvgpr_read_b32 v14, a62                                // 000000008A60: D3D8400E 1800013E
	v_mul_f32_e32 v14, s41, v14                                // 000000008A68: 0A1C1C29
	v_accvgpr_read_b32 v15, a63                                // 000000008A6C: D3D8400F 1800013F
	v_mul_f32_e32 v15, s41, v15                                // 000000008A74: 0A1E1E29
	v_cvt_pk_bf16_f32 v16, v8, v9                              // 000000008A78: D2680010 00021308
	v_cvt_pk_bf16_f32 v17, v10, v11                            // 000000008A80: D2680011 0002170A
	v_cvt_pk_bf16_f32 v18, v12, v13                            // 000000008A88: D2680012 00021B0C
	v_cvt_pk_bf16_f32 v19, v14, v15                            // 000000008A90: D2680013 00021F0E
	s_nop 1                                                    // 000000008A98: BF800001
	v_permlane16_swap_b32_e32 v16, v18                         // 000000008A9C: 7E20B312
	s_nop 1                                                    // 000000008AA0: BF800001
	v_permlane16_swap_b32_e32 v17, v19                         // 000000008AA4: 7E22B313
	s_nop 1                                                    // 000000008AA8: BF800001
	buffer_store_dwordx4 v[16:19], v244, s[4:7], 0 offen       // 000000008AAC: E07C1000 800110F4
	v_add_i32 v244, v244, 64                                   // 000000008AB4: D29C00F4 000181F4
	s_mul_i32 s62, s36, 0                                      // 000000008ABC: 923E8024
	v_add_u32_e32 v244, s62, v241                              // 000000008AC0: 69E9E23E
	v_accvgpr_read_b32 v8, a64                                 // 000000008AC4: D3D84008 18000140
	v_mul_f32_e32 v8, s41, v8                                  // 000000008ACC: 0A101029
	v_accvgpr_read_b32 v9, a65                                 // 000000008AD0: D3D84009 18000141
	v_mul_f32_e32 v9, s41, v9                                  // 000000008AD8: 0A121229
	v_accvgpr_read_b32 v10, a66                                // 000000008ADC: D3D8400A 18000142
	v_mul_f32_e32 v10, s41, v10                                // 000000008AE4: 0A141429
	v_accvgpr_read_b32 v11, a67                                // 000000008AE8: D3D8400B 18000143
	v_mul_f32_e32 v11, s41, v11                                // 000000008AF0: 0A161629
	v_accvgpr_read_b32 v12, a80                                // 000000008AF4: D3D8400C 18000150
	v_mul_f32_e32 v12, s41, v12                                // 000000008AFC: 0A181829
	v_accvgpr_read_b32 v13, a81                                // 000000008B00: D3D8400D 18000151
	v_mul_f32_e32 v13, s41, v13                                // 000000008B08: 0A1A1A29
	v_accvgpr_read_b32 v14, a82                                // 000000008B0C: D3D8400E 18000152
	v_mul_f32_e32 v14, s41, v14                                // 000000008B14: 0A1C1C29
	v_accvgpr_read_b32 v15, a83                                // 000000008B18: D3D8400F 18000153
	v_mul_f32_e32 v15, s41, v15                                // 000000008B20: 0A1E1E29
	v_cvt_pk_bf16_f32 v16, v8, v9                              // 000000008B24: D2680010 00021308
	v_cvt_pk_bf16_f32 v17, v10, v11                            // 000000008B2C: D2680011 0002170A
	v_cvt_pk_bf16_f32 v18, v12, v13                            // 000000008B34: D2680012 00021B0C
	v_cvt_pk_bf16_f32 v19, v14, v15                            // 000000008B3C: D2680013 00021F0E
	s_nop 1                                                    // 000000008B44: BF800001
	v_permlane16_swap_b32_e32 v16, v18                         // 000000008B48: 7E20B312
	s_nop 1                                                    // 000000008B4C: BF800001
	v_permlane16_swap_b32_e32 v17, v19                         // 000000008B50: 7E22B313
	s_nop 1                                                    // 000000008B54: BF800001
	buffer_store_dwordx4 v[16:19], v244, s[4:7], 0 offen       // 000000008B58: E07C1000 800110F4
	v_add_i32 v244, v244, 64                                   // 000000008B60: D29C00F4 000181F4
	v_accvgpr_read_b32 v8, a96                                 // 000000008B68: D3D84008 18000160
	v_mul_f32_e32 v8, s41, v8                                  // 000000008B70: 0A101029
	v_accvgpr_read_b32 v9, a97                                 // 000000008B74: D3D84009 18000161
	v_mul_f32_e32 v9, s41, v9                                  // 000000008B7C: 0A121229
	v_accvgpr_read_b32 v10, a98                                // 000000008B80: D3D8400A 18000162
	v_mul_f32_e32 v10, s41, v10                                // 000000008B88: 0A141429
	v_accvgpr_read_b32 v11, a99                                // 000000008B8C: D3D8400B 18000163
	v_mul_f32_e32 v11, s41, v11                                // 000000008B94: 0A161629
	v_accvgpr_read_b32 v12, a112                               // 000000008B98: D3D8400C 18000170
	v_mul_f32_e32 v12, s41, v12                                // 000000008BA0: 0A181829
	v_accvgpr_read_b32 v13, a113                               // 000000008BA4: D3D8400D 18000171
	v_mul_f32_e32 v13, s41, v13                                // 000000008BAC: 0A1A1A29
	v_accvgpr_read_b32 v14, a114                               // 000000008BB0: D3D8400E 18000172
	v_mul_f32_e32 v14, s41, v14                                // 000000008BB8: 0A1C1C29
	v_accvgpr_read_b32 v15, a115                               // 000000008BBC: D3D8400F 18000173
	v_mul_f32_e32 v15, s41, v15                                // 000000008BC4: 0A1E1E29
	v_cvt_pk_bf16_f32 v16, v8, v9                              // 000000008BC8: D2680010 00021308
	v_cvt_pk_bf16_f32 v17, v10, v11                            // 000000008BD0: D2680011 0002170A
	v_cvt_pk_bf16_f32 v18, v12, v13                            // 000000008BD8: D2680012 00021B0C
	v_cvt_pk_bf16_f32 v19, v14, v15                            // 000000008BE0: D2680013 00021F0E
	s_nop 1                                                    // 000000008BE8: BF800001
	v_permlane16_swap_b32_e32 v16, v18                         // 000000008BEC: 7E20B312
	s_nop 1                                                    // 000000008BF0: BF800001
	v_permlane16_swap_b32_e32 v17, v19                         // 000000008BF4: 7E22B313
	s_nop 1                                                    // 000000008BF8: BF800001
	buffer_store_dwordx4 v[16:19], v244, s[4:7], 0 offen       // 000000008BFC: E07C1000 800110F4
	v_add_i32 v244, v244, 64                                   // 000000008C04: D29C00F4 000181F4
	s_mul_i32 s62, s36, 16                                     // 000000008C0C: 923E9024
	v_add_u32_e32 v244, s62, v241                              // 000000008C10: 69E9E23E
	v_accvgpr_read_b32 v8, a68                                 // 000000008C14: D3D84008 18000144
	v_mul_f32_e32 v8, s41, v8                                  // 000000008C1C: 0A101029
	v_accvgpr_read_b32 v9, a69                                 // 000000008C20: D3D84009 18000145
	v_mul_f32_e32 v9, s41, v9                                  // 000000008C28: 0A121229
	v_accvgpr_read_b32 v10, a70                                // 000000008C2C: D3D8400A 18000146
	v_mul_f32_e32 v10, s41, v10                                // 000000008C34: 0A141429
	v_accvgpr_read_b32 v11, a71                                // 000000008C38: D3D8400B 18000147
	v_mul_f32_e32 v11, s41, v11                                // 000000008C40: 0A161629
	v_accvgpr_read_b32 v12, a84                                // 000000008C44: D3D8400C 18000154
	v_mul_f32_e32 v12, s41, v12                                // 000000008C4C: 0A181829
	v_accvgpr_read_b32 v13, a85                                // 000000008C50: D3D8400D 18000155
	v_mul_f32_e32 v13, s41, v13                                // 000000008C58: 0A1A1A29
	v_accvgpr_read_b32 v14, a86                                // 000000008C5C: D3D8400E 18000156
	v_mul_f32_e32 v14, s41, v14                                // 000000008C64: 0A1C1C29
	v_accvgpr_read_b32 v15, a87                                // 000000008C68: D3D8400F 18000157
	v_mul_f32_e32 v15, s41, v15                                // 000000008C70: 0A1E1E29
	v_cvt_pk_bf16_f32 v16, v8, v9                              // 000000008C74: D2680010 00021308
	v_cvt_pk_bf16_f32 v17, v10, v11                            // 000000008C7C: D2680011 0002170A
	v_cvt_pk_bf16_f32 v18, v12, v13                            // 000000008C84: D2680012 00021B0C
	v_cvt_pk_bf16_f32 v19, v14, v15                            // 000000008C8C: D2680013 00021F0E
	s_nop 1                                                    // 000000008C94: BF800001
	v_permlane16_swap_b32_e32 v16, v18                         // 000000008C98: 7E20B312
	s_nop 1                                                    // 000000008C9C: BF800001
	v_permlane16_swap_b32_e32 v17, v19                         // 000000008CA0: 7E22B313
	s_nop 1                                                    // 000000008CA4: BF800001
	buffer_store_dwordx4 v[16:19], v244, s[4:7], 0 offen       // 000000008CA8: E07C1000 800110F4
	v_add_i32 v244, v244, 64                                   // 000000008CB0: D29C00F4 000181F4
	v_accvgpr_read_b32 v8, a100                                // 000000008CB8: D3D84008 18000164
	v_mul_f32_e32 v8, s41, v8                                  // 000000008CC0: 0A101029
	v_accvgpr_read_b32 v9, a101                                // 000000008CC4: D3D84009 18000165
	v_mul_f32_e32 v9, s41, v9                                  // 000000008CCC: 0A121229
	v_accvgpr_read_b32 v10, a102                               // 000000008CD0: D3D8400A 18000166
	v_mul_f32_e32 v10, s41, v10                                // 000000008CD8: 0A141429
	v_accvgpr_read_b32 v11, a103                               // 000000008CDC: D3D8400B 18000167
	v_mul_f32_e32 v11, s41, v11                                // 000000008CE4: 0A161629
	v_accvgpr_read_b32 v12, a116                               // 000000008CE8: D3D8400C 18000174
	v_mul_f32_e32 v12, s41, v12                                // 000000008CF0: 0A181829
	v_accvgpr_read_b32 v13, a117                               // 000000008CF4: D3D8400D 18000175
	v_mul_f32_e32 v13, s41, v13                                // 000000008CFC: 0A1A1A29
	v_accvgpr_read_b32 v14, a118                               // 000000008D00: D3D8400E 18000176
	v_mul_f32_e32 v14, s41, v14                                // 000000008D08: 0A1C1C29
	v_accvgpr_read_b32 v15, a119                               // 000000008D0C: D3D8400F 18000177
	v_mul_f32_e32 v15, s41, v15                                // 000000008D14: 0A1E1E29
	v_cvt_pk_bf16_f32 v16, v8, v9                              // 000000008D18: D2680010 00021308
	v_cvt_pk_bf16_f32 v17, v10, v11                            // 000000008D20: D2680011 0002170A
	v_cvt_pk_bf16_f32 v18, v12, v13                            // 000000008D28: D2680012 00021B0C
	v_cvt_pk_bf16_f32 v19, v14, v15                            // 000000008D30: D2680013 00021F0E
	s_nop 1                                                    // 000000008D38: BF800001
	v_permlane16_swap_b32_e32 v16, v18                         // 000000008D3C: 7E20B312
	s_nop 1                                                    // 000000008D40: BF800001
	v_permlane16_swap_b32_e32 v17, v19                         // 000000008D44: 7E22B313
	s_nop 1                                                    // 000000008D48: BF800001
	buffer_store_dwordx4 v[16:19], v244, s[4:7], 0 offen       // 000000008D4C: E07C1000 800110F4
	v_add_i32 v244, v244, 64                                   // 000000008D54: D29C00F4 000181F4
	s_mul_i32 s62, s36, 32                                     // 000000008D5C: 923EA024
	v_add_u32_e32 v244, s62, v241                              // 000000008D60: 69E9E23E
	v_accvgpr_read_b32 v8, a72                                 // 000000008D64: D3D84008 18000148
	v_mul_f32_e32 v8, s41, v8                                  // 000000008D6C: 0A101029
	v_accvgpr_read_b32 v9, a73                                 // 000000008D70: D3D84009 18000149
	v_mul_f32_e32 v9, s41, v9                                  // 000000008D78: 0A121229
	v_accvgpr_read_b32 v10, a74                                // 000000008D7C: D3D8400A 1800014A
	v_mul_f32_e32 v10, s41, v10                                // 000000008D84: 0A141429
	v_accvgpr_read_b32 v11, a75                                // 000000008D88: D3D8400B 1800014B
	v_mul_f32_e32 v11, s41, v11                                // 000000008D90: 0A161629
	v_accvgpr_read_b32 v12, a88                                // 000000008D94: D3D8400C 18000158
	v_mul_f32_e32 v12, s41, v12                                // 000000008D9C: 0A181829
	v_accvgpr_read_b32 v13, a89                                // 000000008DA0: D3D8400D 18000159
	v_mul_f32_e32 v13, s41, v13                                // 000000008DA8: 0A1A1A29
	v_accvgpr_read_b32 v14, a90                                // 000000008DAC: D3D8400E 1800015A
	v_mul_f32_e32 v14, s41, v14                                // 000000008DB4: 0A1C1C29
	v_accvgpr_read_b32 v15, a91                                // 000000008DB8: D3D8400F 1800015B
	v_mul_f32_e32 v15, s41, v15                                // 000000008DC0: 0A1E1E29
	v_cvt_pk_bf16_f32 v16, v8, v9                              // 000000008DC4: D2680010 00021308
	v_cvt_pk_bf16_f32 v17, v10, v11                            // 000000008DCC: D2680011 0002170A
	v_cvt_pk_bf16_f32 v18, v12, v13                            // 000000008DD4: D2680012 00021B0C
	v_cvt_pk_bf16_f32 v19, v14, v15                            // 000000008DDC: D2680013 00021F0E
	s_nop 1                                                    // 000000008DE4: BF800001
	v_permlane16_swap_b32_e32 v16, v18                         // 000000008DE8: 7E20B312
	s_nop 1                                                    // 000000008DEC: BF800001
	v_permlane16_swap_b32_e32 v17, v19                         // 000000008DF0: 7E22B313
	s_nop 1                                                    // 000000008DF4: BF800001
	buffer_store_dwordx4 v[16:19], v244, s[4:7], 0 offen       // 000000008DF8: E07C1000 800110F4
	v_add_i32 v244, v244, 64                                   // 000000008E00: D29C00F4 000181F4
	v_accvgpr_read_b32 v8, a104                                // 000000008E08: D3D84008 18000168
	v_mul_f32_e32 v8, s41, v8                                  // 000000008E10: 0A101029
	v_accvgpr_read_b32 v9, a105                                // 000000008E14: D3D84009 18000169
	v_mul_f32_e32 v9, s41, v9                                  // 000000008E1C: 0A121229
	v_accvgpr_read_b32 v10, a106                               // 000000008E20: D3D8400A 1800016A
	v_mul_f32_e32 v10, s41, v10                                // 000000008E28: 0A141429
	v_accvgpr_read_b32 v11, a107                               // 000000008E2C: D3D8400B 1800016B
	v_mul_f32_e32 v11, s41, v11                                // 000000008E34: 0A161629
	v_accvgpr_read_b32 v12, a120                               // 000000008E38: D3D8400C 18000178
	v_mul_f32_e32 v12, s41, v12                                // 000000008E40: 0A181829
	v_accvgpr_read_b32 v13, a121                               // 000000008E44: D3D8400D 18000179
	v_mul_f32_e32 v13, s41, v13                                // 000000008E4C: 0A1A1A29
	v_accvgpr_read_b32 v14, a122                               // 000000008E50: D3D8400E 1800017A
	v_mul_f32_e32 v14, s41, v14                                // 000000008E58: 0A1C1C29
	v_accvgpr_read_b32 v15, a123                               // 000000008E5C: D3D8400F 1800017B
	v_mul_f32_e32 v15, s41, v15                                // 000000008E64: 0A1E1E29
	v_cvt_pk_bf16_f32 v16, v8, v9                              // 000000008E68: D2680010 00021308
	v_cvt_pk_bf16_f32 v17, v10, v11                            // 000000008E70: D2680011 0002170A
	v_cvt_pk_bf16_f32 v18, v12, v13                            // 000000008E78: D2680012 00021B0C
	v_cvt_pk_bf16_f32 v19, v14, v15                            // 000000008E80: D2680013 00021F0E
	s_nop 1                                                    // 000000008E88: BF800001
	v_permlane16_swap_b32_e32 v16, v18                         // 000000008E8C: 7E20B312
	s_nop 1                                                    // 000000008E90: BF800001
	v_permlane16_swap_b32_e32 v17, v19                         // 000000008E94: 7E22B313
	s_nop 1                                                    // 000000008E98: BF800001
	buffer_store_dwordx4 v[16:19], v244, s[4:7], 0 offen       // 000000008E9C: E07C1000 800110F4
	v_add_i32 v244, v244, 64                                   // 000000008EA4: D29C00F4 000181F4
	s_mul_i32 s62, s36, 48                                     // 000000008EAC: 923EB024
	v_add_u32_e32 v244, s62, v241                              // 000000008EB0: 69E9E23E
	v_accvgpr_read_b32 v8, a76                                 // 000000008EB4: D3D84008 1800014C
	v_mul_f32_e32 v8, s41, v8                                  // 000000008EBC: 0A101029
	v_accvgpr_read_b32 v9, a77                                 // 000000008EC0: D3D84009 1800014D
	v_mul_f32_e32 v9, s41, v9                                  // 000000008EC8: 0A121229
	v_accvgpr_read_b32 v10, a78                                // 000000008ECC: D3D8400A 1800014E
	v_mul_f32_e32 v10, s41, v10                                // 000000008ED4: 0A141429
	v_accvgpr_read_b32 v11, a79                                // 000000008ED8: D3D8400B 1800014F
	v_mul_f32_e32 v11, s41, v11                                // 000000008EE0: 0A161629
	v_accvgpr_read_b32 v12, a92                                // 000000008EE4: D3D8400C 1800015C
	v_mul_f32_e32 v12, s41, v12                                // 000000008EEC: 0A181829
	v_accvgpr_read_b32 v13, a93                                // 000000008EF0: D3D8400D 1800015D
	v_mul_f32_e32 v13, s41, v13                                // 000000008EF8: 0A1A1A29
	v_accvgpr_read_b32 v14, a94                                // 000000008EFC: D3D8400E 1800015E
	v_mul_f32_e32 v14, s41, v14                                // 000000008F04: 0A1C1C29
	v_accvgpr_read_b32 v15, a95                                // 000000008F08: D3D8400F 1800015F
	v_mul_f32_e32 v15, s41, v15                                // 000000008F10: 0A1E1E29
	v_cvt_pk_bf16_f32 v16, v8, v9                              // 000000008F14: D2680010 00021308
	v_cvt_pk_bf16_f32 v17, v10, v11                            // 000000008F1C: D2680011 0002170A
	v_cvt_pk_bf16_f32 v18, v12, v13                            // 000000008F24: D2680012 00021B0C
	v_cvt_pk_bf16_f32 v19, v14, v15                            // 000000008F2C: D2680013 00021F0E
	s_nop 1                                                    // 000000008F34: BF800001
	v_permlane16_swap_b32_e32 v16, v18                         // 000000008F38: 7E20B312
	s_nop 1                                                    // 000000008F3C: BF800001
	v_permlane16_swap_b32_e32 v17, v19                         // 000000008F40: 7E22B313
	s_nop 1                                                    // 000000008F44: BF800001
	buffer_store_dwordx4 v[16:19], v244, s[4:7], 0 offen       // 000000008F48: E07C1000 800110F4
	v_add_i32 v244, v244, 64                                   // 000000008F50: D29C00F4 000181F4
	v_accvgpr_read_b32 v8, a108                                // 000000008F58: D3D84008 1800016C
	v_mul_f32_e32 v8, s41, v8                                  // 000000008F60: 0A101029
	v_accvgpr_read_b32 v9, a109                                // 000000008F64: D3D84009 1800016D
	v_mul_f32_e32 v9, s41, v9                                  // 000000008F6C: 0A121229
	v_accvgpr_read_b32 v10, a110                               // 000000008F70: D3D8400A 1800016E
	v_mul_f32_e32 v10, s41, v10                                // 000000008F78: 0A141429
	v_accvgpr_read_b32 v11, a111                               // 000000008F7C: D3D8400B 1800016F
	v_mul_f32_e32 v11, s41, v11                                // 000000008F84: 0A161629
	v_accvgpr_read_b32 v12, a124                               // 000000008F88: D3D8400C 1800017C
	v_mul_f32_e32 v12, s41, v12                                // 000000008F90: 0A181829
	v_accvgpr_read_b32 v13, a125                               // 000000008F94: D3D8400D 1800017D
	v_mul_f32_e32 v13, s41, v13                                // 000000008F9C: 0A1A1A29
	v_accvgpr_read_b32 v14, a126                               // 000000008FA0: D3D8400E 1800017E
	v_mul_f32_e32 v14, s41, v14                                // 000000008FA8: 0A1C1C29
	v_accvgpr_read_b32 v15, a127                               // 000000008FAC: D3D8400F 1800017F
	v_mul_f32_e32 v15, s41, v15                                // 000000008FB4: 0A1E1E29
	v_cvt_pk_bf16_f32 v16, v8, v9                              // 000000008FB8: D2680010 00021308
	v_cvt_pk_bf16_f32 v17, v10, v11                            // 000000008FC0: D2680011 0002170A
	v_cvt_pk_bf16_f32 v18, v12, v13                            // 000000008FC8: D2680012 00021B0C
	v_cvt_pk_bf16_f32 v19, v14, v15                            // 000000008FD0: D2680013 00021F0E
	s_nop 1                                                    // 000000008FD8: BF800001
	v_permlane16_swap_b32_e32 v16, v18                         // 000000008FDC: 7E20B312
	s_nop 1                                                    // 000000008FE0: BF800001
	v_permlane16_swap_b32_e32 v17, v19                         // 000000008FE4: 7E22B313
	s_nop 1                                                    // 000000008FE8: BF800001
	buffer_store_dwordx4 v[16:19], v244, s[4:7], 0 offen       // 000000008FEC: E07C1000 800110F4
	v_add_i32 v244, v244, 64                                   // 000000008FF4: D29C00F4 000181F4
	s_mul_i32 s62, s36, 0                                      // 000000008FFC: 923E8024
	v_add_u32_e32 v244, s62, v242                              // 000000009000: 69E9E43E
	v_accvgpr_read_b32 v8, a128                                // 000000009004: D3D84008 18000180
	v_mul_f32_e32 v8, s41, v8                                  // 00000000900C: 0A101029
	v_accvgpr_read_b32 v9, a129                                // 000000009010: D3D84009 18000181
	v_mul_f32_e32 v9, s41, v9                                  // 000000009018: 0A121229
	v_accvgpr_read_b32 v10, a130                               // 00000000901C: D3D8400A 18000182
	v_mul_f32_e32 v10, s41, v10                                // 000000009024: 0A141429
	v_accvgpr_read_b32 v11, a131                               // 000000009028: D3D8400B 18000183
	v_mul_f32_e32 v11, s41, v11                                // 000000009030: 0A161629
	v_accvgpr_read_b32 v12, a144                               // 000000009034: D3D8400C 18000190
	v_mul_f32_e32 v12, s41, v12                                // 00000000903C: 0A181829
	v_accvgpr_read_b32 v13, a145                               // 000000009040: D3D8400D 18000191
	v_mul_f32_e32 v13, s41, v13                                // 000000009048: 0A1A1A29
	v_accvgpr_read_b32 v14, a146                               // 00000000904C: D3D8400E 18000192
	v_mul_f32_e32 v14, s41, v14                                // 000000009054: 0A1C1C29
	v_accvgpr_read_b32 v15, a147                               // 000000009058: D3D8400F 18000193
	v_mul_f32_e32 v15, s41, v15                                // 000000009060: 0A1E1E29
	v_cvt_pk_bf16_f32 v16, v8, v9                              // 000000009064: D2680010 00021308
	v_cvt_pk_bf16_f32 v17, v10, v11                            // 00000000906C: D2680011 0002170A
	v_cvt_pk_bf16_f32 v18, v12, v13                            // 000000009074: D2680012 00021B0C
	v_cvt_pk_bf16_f32 v19, v14, v15                            // 00000000907C: D2680013 00021F0E
	s_nop 1                                                    // 000000009084: BF800001
	v_permlane16_swap_b32_e32 v16, v18                         // 000000009088: 7E20B312
	s_nop 1                                                    // 00000000908C: BF800001
	v_permlane16_swap_b32_e32 v17, v19                         // 000000009090: 7E22B313
	s_nop 1                                                    // 000000009094: BF800001
	buffer_store_dwordx4 v[16:19], v244, s[4:7], 0 offen       // 000000009098: E07C1000 800110F4
	v_add_i32 v244, v244, 64                                   // 0000000090A0: D29C00F4 000181F4
	v_accvgpr_read_b32 v8, a160                                // 0000000090A8: D3D84008 180001A0
	v_mul_f32_e32 v8, s41, v8                                  // 0000000090B0: 0A101029
	v_accvgpr_read_b32 v9, a161                                // 0000000090B4: D3D84009 180001A1
	v_mul_f32_e32 v9, s41, v9                                  // 0000000090BC: 0A121229
	v_accvgpr_read_b32 v10, a162                               // 0000000090C0: D3D8400A 180001A2
	v_mul_f32_e32 v10, s41, v10                                // 0000000090C8: 0A141429
	v_accvgpr_read_b32 v11, a163                               // 0000000090CC: D3D8400B 180001A3
	v_mul_f32_e32 v11, s41, v11                                // 0000000090D4: 0A161629
	v_accvgpr_read_b32 v12, a176                               // 0000000090D8: D3D8400C 180001B0
	v_mul_f32_e32 v12, s41, v12                                // 0000000090E0: 0A181829
	v_accvgpr_read_b32 v13, a177                               // 0000000090E4: D3D8400D 180001B1
	v_mul_f32_e32 v13, s41, v13                                // 0000000090EC: 0A1A1A29
	v_accvgpr_read_b32 v14, a178                               // 0000000090F0: D3D8400E 180001B2
	v_mul_f32_e32 v14, s41, v14                                // 0000000090F8: 0A1C1C29
	v_accvgpr_read_b32 v15, a179                               // 0000000090FC: D3D8400F 180001B3
	v_mul_f32_e32 v15, s41, v15                                // 000000009104: 0A1E1E29
	v_cvt_pk_bf16_f32 v16, v8, v9                              // 000000009108: D2680010 00021308
	v_cvt_pk_bf16_f32 v17, v10, v11                            // 000000009110: D2680011 0002170A
	v_cvt_pk_bf16_f32 v18, v12, v13                            // 000000009118: D2680012 00021B0C
	v_cvt_pk_bf16_f32 v19, v14, v15                            // 000000009120: D2680013 00021F0E
	s_nop 1                                                    // 000000009128: BF800001
	v_permlane16_swap_b32_e32 v16, v18                         // 00000000912C: 7E20B312
	s_nop 1                                                    // 000000009130: BF800001
	v_permlane16_swap_b32_e32 v17, v19                         // 000000009134: 7E22B313
	s_nop 1                                                    // 000000009138: BF800001
	buffer_store_dwordx4 v[16:19], v244, s[4:7], 0 offen       // 00000000913C: E07C1000 800110F4
	v_add_i32 v244, v244, 64                                   // 000000009144: D29C00F4 000181F4
	s_mul_i32 s62, s36, 16                                     // 00000000914C: 923E9024
	v_add_u32_e32 v244, s62, v242                              // 000000009150: 69E9E43E
	v_accvgpr_read_b32 v8, a132                                // 000000009154: D3D84008 18000184
	v_mul_f32_e32 v8, s41, v8                                  // 00000000915C: 0A101029
	v_accvgpr_read_b32 v9, a133                                // 000000009160: D3D84009 18000185
	v_mul_f32_e32 v9, s41, v9                                  // 000000009168: 0A121229
	v_accvgpr_read_b32 v10, a134                               // 00000000916C: D3D8400A 18000186
	v_mul_f32_e32 v10, s41, v10                                // 000000009174: 0A141429
	v_accvgpr_read_b32 v11, a135                               // 000000009178: D3D8400B 18000187
	v_mul_f32_e32 v11, s41, v11                                // 000000009180: 0A161629
	v_accvgpr_read_b32 v12, a148                               // 000000009184: D3D8400C 18000194
	v_mul_f32_e32 v12, s41, v12                                // 00000000918C: 0A181829
	v_accvgpr_read_b32 v13, a149                               // 000000009190: D3D8400D 18000195
	v_mul_f32_e32 v13, s41, v13                                // 000000009198: 0A1A1A29
	v_accvgpr_read_b32 v14, a150                               // 00000000919C: D3D8400E 18000196
	v_mul_f32_e32 v14, s41, v14                                // 0000000091A4: 0A1C1C29
	v_accvgpr_read_b32 v15, a151                               // 0000000091A8: D3D8400F 18000197
	v_mul_f32_e32 v15, s41, v15                                // 0000000091B0: 0A1E1E29
	v_cvt_pk_bf16_f32 v16, v8, v9                              // 0000000091B4: D2680010 00021308
	v_cvt_pk_bf16_f32 v17, v10, v11                            // 0000000091BC: D2680011 0002170A
	v_cvt_pk_bf16_f32 v18, v12, v13                            // 0000000091C4: D2680012 00021B0C
	v_cvt_pk_bf16_f32 v19, v14, v15                            // 0000000091CC: D2680013 00021F0E
	s_nop 1                                                    // 0000000091D4: BF800001
	v_permlane16_swap_b32_e32 v16, v18                         // 0000000091D8: 7E20B312
	s_nop 1                                                    // 0000000091DC: BF800001
	v_permlane16_swap_b32_e32 v17, v19                         // 0000000091E0: 7E22B313
	s_nop 1                                                    // 0000000091E4: BF800001
	buffer_store_dwordx4 v[16:19], v244, s[4:7], 0 offen       // 0000000091E8: E07C1000 800110F4
	v_add_i32 v244, v244, 64                                   // 0000000091F0: D29C00F4 000181F4
	v_accvgpr_read_b32 v8, a164                                // 0000000091F8: D3D84008 180001A4
	v_mul_f32_e32 v8, s41, v8                                  // 000000009200: 0A101029
	v_accvgpr_read_b32 v9, a165                                // 000000009204: D3D84009 180001A5
	v_mul_f32_e32 v9, s41, v9                                  // 00000000920C: 0A121229
	v_accvgpr_read_b32 v10, a166                               // 000000009210: D3D8400A 180001A6
	v_mul_f32_e32 v10, s41, v10                                // 000000009218: 0A141429
	v_accvgpr_read_b32 v11, a167                               // 00000000921C: D3D8400B 180001A7
	v_mul_f32_e32 v11, s41, v11                                // 000000009224: 0A161629
	v_accvgpr_read_b32 v12, a180                               // 000000009228: D3D8400C 180001B4
	v_mul_f32_e32 v12, s41, v12                                // 000000009230: 0A181829
	v_accvgpr_read_b32 v13, a181                               // 000000009234: D3D8400D 180001B5
	v_mul_f32_e32 v13, s41, v13                                // 00000000923C: 0A1A1A29
	v_accvgpr_read_b32 v14, a182                               // 000000009240: D3D8400E 180001B6
	v_mul_f32_e32 v14, s41, v14                                // 000000009248: 0A1C1C29
	v_accvgpr_read_b32 v15, a183                               // 00000000924C: D3D8400F 180001B7
	v_mul_f32_e32 v15, s41, v15                                // 000000009254: 0A1E1E29
	v_cvt_pk_bf16_f32 v16, v8, v9                              // 000000009258: D2680010 00021308
	v_cvt_pk_bf16_f32 v17, v10, v11                            // 000000009260: D2680011 0002170A
	v_cvt_pk_bf16_f32 v18, v12, v13                            // 000000009268: D2680012 00021B0C
	v_cvt_pk_bf16_f32 v19, v14, v15                            // 000000009270: D2680013 00021F0E
	s_nop 1                                                    // 000000009278: BF800001
	v_permlane16_swap_b32_e32 v16, v18                         // 00000000927C: 7E20B312
	s_nop 1                                                    // 000000009280: BF800001
	v_permlane16_swap_b32_e32 v17, v19                         // 000000009284: 7E22B313
	s_nop 1                                                    // 000000009288: BF800001
	buffer_store_dwordx4 v[16:19], v244, s[4:7], 0 offen       // 00000000928C: E07C1000 800110F4
	v_add_i32 v244, v244, 64                                   // 000000009294: D29C00F4 000181F4
	s_mul_i32 s62, s36, 32                                     // 00000000929C: 923EA024
	v_add_u32_e32 v244, s62, v242                              // 0000000092A0: 69E9E43E
	v_accvgpr_read_b32 v8, a136                                // 0000000092A4: D3D84008 18000188
	v_mul_f32_e32 v8, s41, v8                                  // 0000000092AC: 0A101029
	v_accvgpr_read_b32 v9, a137                                // 0000000092B0: D3D84009 18000189
	v_mul_f32_e32 v9, s41, v9                                  // 0000000092B8: 0A121229
	v_accvgpr_read_b32 v10, a138                               // 0000000092BC: D3D8400A 1800018A
	v_mul_f32_e32 v10, s41, v10                                // 0000000092C4: 0A141429
	v_accvgpr_read_b32 v11, a139                               // 0000000092C8: D3D8400B 1800018B
	v_mul_f32_e32 v11, s41, v11                                // 0000000092D0: 0A161629
	v_accvgpr_read_b32 v12, a152                               // 0000000092D4: D3D8400C 18000198
	v_mul_f32_e32 v12, s41, v12                                // 0000000092DC: 0A181829
	v_accvgpr_read_b32 v13, a153                               // 0000000092E0: D3D8400D 18000199
	v_mul_f32_e32 v13, s41, v13                                // 0000000092E8: 0A1A1A29
	v_accvgpr_read_b32 v14, a154                               // 0000000092EC: D3D8400E 1800019A
	v_mul_f32_e32 v14, s41, v14                                // 0000000092F4: 0A1C1C29
	v_accvgpr_read_b32 v15, a155                               // 0000000092F8: D3D8400F 1800019B
	v_mul_f32_e32 v15, s41, v15                                // 000000009300: 0A1E1E29
	v_cvt_pk_bf16_f32 v16, v8, v9                              // 000000009304: D2680010 00021308
	v_cvt_pk_bf16_f32 v17, v10, v11                            // 00000000930C: D2680011 0002170A
	v_cvt_pk_bf16_f32 v18, v12, v13                            // 000000009314: D2680012 00021B0C
	v_cvt_pk_bf16_f32 v19, v14, v15                            // 00000000931C: D2680013 00021F0E
	s_nop 1                                                    // 000000009324: BF800001
	v_permlane16_swap_b32_e32 v16, v18                         // 000000009328: 7E20B312
	s_nop 1                                                    // 00000000932C: BF800001
	v_permlane16_swap_b32_e32 v17, v19                         // 000000009330: 7E22B313
	s_nop 1                                                    // 000000009334: BF800001
	buffer_store_dwordx4 v[16:19], v244, s[4:7], 0 offen       // 000000009338: E07C1000 800110F4
	v_add_i32 v244, v244, 64                                   // 000000009340: D29C00F4 000181F4
	v_accvgpr_read_b32 v8, a168                                // 000000009348: D3D84008 180001A8
	v_mul_f32_e32 v8, s41, v8                                  // 000000009350: 0A101029
	v_accvgpr_read_b32 v9, a169                                // 000000009354: D3D84009 180001A9
	v_mul_f32_e32 v9, s41, v9                                  // 00000000935C: 0A121229
	v_accvgpr_read_b32 v10, a170                               // 000000009360: D3D8400A 180001AA
	v_mul_f32_e32 v10, s41, v10                                // 000000009368: 0A141429
	v_accvgpr_read_b32 v11, a171                               // 00000000936C: D3D8400B 180001AB
	v_mul_f32_e32 v11, s41, v11                                // 000000009374: 0A161629
	v_accvgpr_read_b32 v12, a184                               // 000000009378: D3D8400C 180001B8
	v_mul_f32_e32 v12, s41, v12                                // 000000009380: 0A181829
	v_accvgpr_read_b32 v13, a185                               // 000000009384: D3D8400D 180001B9
	v_mul_f32_e32 v13, s41, v13                                // 00000000938C: 0A1A1A29
	v_accvgpr_read_b32 v14, a186                               // 000000009390: D3D8400E 180001BA
	v_mul_f32_e32 v14, s41, v14                                // 000000009398: 0A1C1C29
	v_accvgpr_read_b32 v15, a187                               // 00000000939C: D3D8400F 180001BB
	v_mul_f32_e32 v15, s41, v15                                // 0000000093A4: 0A1E1E29
	v_cvt_pk_bf16_f32 v16, v8, v9                              // 0000000093A8: D2680010 00021308
	v_cvt_pk_bf16_f32 v17, v10, v11                            // 0000000093B0: D2680011 0002170A
	v_cvt_pk_bf16_f32 v18, v12, v13                            // 0000000093B8: D2680012 00021B0C
	v_cvt_pk_bf16_f32 v19, v14, v15                            // 0000000093C0: D2680013 00021F0E
	s_nop 1                                                    // 0000000093C8: BF800001
	v_permlane16_swap_b32_e32 v16, v18                         // 0000000093CC: 7E20B312
	s_nop 1                                                    // 0000000093D0: BF800001
	v_permlane16_swap_b32_e32 v17, v19                         // 0000000093D4: 7E22B313
	s_nop 1                                                    // 0000000093D8: BF800001
	buffer_store_dwordx4 v[16:19], v244, s[4:7], 0 offen       // 0000000093DC: E07C1000 800110F4
	v_add_i32 v244, v244, 64                                   // 0000000093E4: D29C00F4 000181F4
	s_mul_i32 s62, s36, 48                                     // 0000000093EC: 923EB024
	v_add_u32_e32 v244, s62, v242                              // 0000000093F0: 69E9E43E
	v_accvgpr_read_b32 v8, a140                                // 0000000093F4: D3D84008 1800018C
	v_mul_f32_e32 v8, s41, v8                                  // 0000000093FC: 0A101029
	v_accvgpr_read_b32 v9, a141                                // 000000009400: D3D84009 1800018D
	v_mul_f32_e32 v9, s41, v9                                  // 000000009408: 0A121229
	v_accvgpr_read_b32 v10, a142                               // 00000000940C: D3D8400A 1800018E
	v_mul_f32_e32 v10, s41, v10                                // 000000009414: 0A141429
	v_accvgpr_read_b32 v11, a143                               // 000000009418: D3D8400B 1800018F
	v_mul_f32_e32 v11, s41, v11                                // 000000009420: 0A161629
	v_accvgpr_read_b32 v12, a156                               // 000000009424: D3D8400C 1800019C
	v_mul_f32_e32 v12, s41, v12                                // 00000000942C: 0A181829
	v_accvgpr_read_b32 v13, a157                               // 000000009430: D3D8400D 1800019D
	v_mul_f32_e32 v13, s41, v13                                // 000000009438: 0A1A1A29
	v_accvgpr_read_b32 v14, a158                               // 00000000943C: D3D8400E 1800019E
	v_mul_f32_e32 v14, s41, v14                                // 000000009444: 0A1C1C29
	v_accvgpr_read_b32 v15, a159                               // 000000009448: D3D8400F 1800019F
	v_mul_f32_e32 v15, s41, v15                                // 000000009450: 0A1E1E29
	v_cvt_pk_bf16_f32 v16, v8, v9                              // 000000009454: D2680010 00021308
	v_cvt_pk_bf16_f32 v17, v10, v11                            // 00000000945C: D2680011 0002170A
	v_cvt_pk_bf16_f32 v18, v12, v13                            // 000000009464: D2680012 00021B0C
	v_cvt_pk_bf16_f32 v19, v14, v15                            // 00000000946C: D2680013 00021F0E
	s_nop 1                                                    // 000000009474: BF800001
	v_permlane16_swap_b32_e32 v16, v18                         // 000000009478: 7E20B312
	s_nop 1                                                    // 00000000947C: BF800001
	v_permlane16_swap_b32_e32 v17, v19                         // 000000009480: 7E22B313
	s_nop 1                                                    // 000000009484: BF800001
	buffer_store_dwordx4 v[16:19], v244, s[4:7], 0 offen       // 000000009488: E07C1000 800110F4
	v_add_i32 v244, v244, 64                                   // 000000009490: D29C00F4 000181F4
	v_accvgpr_read_b32 v8, a172                                // 000000009498: D3D84008 180001AC
	v_mul_f32_e32 v8, s41, v8                                  // 0000000094A0: 0A101029
	v_accvgpr_read_b32 v9, a173                                // 0000000094A4: D3D84009 180001AD
	v_mul_f32_e32 v9, s41, v9                                  // 0000000094AC: 0A121229
	v_accvgpr_read_b32 v10, a174                               // 0000000094B0: D3D8400A 180001AE
	v_mul_f32_e32 v10, s41, v10                                // 0000000094B8: 0A141429
	v_accvgpr_read_b32 v11, a175                               // 0000000094BC: D3D8400B 180001AF
	v_mul_f32_e32 v11, s41, v11                                // 0000000094C4: 0A161629
	v_accvgpr_read_b32 v12, a188                               // 0000000094C8: D3D8400C 180001BC
	v_mul_f32_e32 v12, s41, v12                                // 0000000094D0: 0A181829
	v_accvgpr_read_b32 v13, a189                               // 0000000094D4: D3D8400D 180001BD
	v_mul_f32_e32 v13, s41, v13                                // 0000000094DC: 0A1A1A29
	v_accvgpr_read_b32 v14, a190                               // 0000000094E0: D3D8400E 180001BE
	v_mul_f32_e32 v14, s41, v14                                // 0000000094E8: 0A1C1C29
	v_accvgpr_read_b32 v15, a191                               // 0000000094EC: D3D8400F 180001BF
	v_mul_f32_e32 v15, s41, v15                                // 0000000094F4: 0A1E1E29
	v_cvt_pk_bf16_f32 v16, v8, v9                              // 0000000094F8: D2680010 00021308
	v_cvt_pk_bf16_f32 v17, v10, v11                            // 000000009500: D2680011 0002170A
	v_cvt_pk_bf16_f32 v18, v12, v13                            // 000000009508: D2680012 00021B0C
	v_cvt_pk_bf16_f32 v19, v14, v15                            // 000000009510: D2680013 00021F0E
	s_nop 1                                                    // 000000009518: BF800001
	v_permlane16_swap_b32_e32 v16, v18                         // 00000000951C: 7E20B312
	s_nop 1                                                    // 000000009520: BF800001
	v_permlane16_swap_b32_e32 v17, v19                         // 000000009524: 7E22B313
	s_nop 1                                                    // 000000009528: BF800001
	buffer_store_dwordx4 v[16:19], v244, s[4:7], 0 offen       // 00000000952C: E07C1000 800110F4
	v_add_i32 v244, v244, 64                                   // 000000009534: D29C00F4 000181F4
	s_mul_i32 s62, s36, 0                                      // 00000000953C: 923E8024
	v_add_u32_e32 v244, s62, v243                              // 000000009540: 69E9E63E
	v_accvgpr_read_b32 v8, a192                                // 000000009544: D3D84008 180001C0
	v_mul_f32_e32 v8, s41, v8                                  // 00000000954C: 0A101029
	v_accvgpr_read_b32 v9, a193                                // 000000009550: D3D84009 180001C1
	v_mul_f32_e32 v9, s41, v9                                  // 000000009558: 0A121229
	v_accvgpr_read_b32 v10, a194                               // 00000000955C: D3D8400A 180001C2
	v_mul_f32_e32 v10, s41, v10                                // 000000009564: 0A141429
	v_accvgpr_read_b32 v11, a195                               // 000000009568: D3D8400B 180001C3
	v_mul_f32_e32 v11, s41, v11                                // 000000009570: 0A161629
	v_accvgpr_read_b32 v12, a208                               // 000000009574: D3D8400C 180001D0
	v_mul_f32_e32 v12, s41, v12                                // 00000000957C: 0A181829
	v_accvgpr_read_b32 v13, a209                               // 000000009580: D3D8400D 180001D1
	v_mul_f32_e32 v13, s41, v13                                // 000000009588: 0A1A1A29
	v_accvgpr_read_b32 v14, a210                               // 00000000958C: D3D8400E 180001D2
	v_mul_f32_e32 v14, s41, v14                                // 000000009594: 0A1C1C29
	v_accvgpr_read_b32 v15, a211                               // 000000009598: D3D8400F 180001D3
	v_mul_f32_e32 v15, s41, v15                                // 0000000095A0: 0A1E1E29
	v_cvt_pk_bf16_f32 v16, v8, v9                              // 0000000095A4: D2680010 00021308
	v_cvt_pk_bf16_f32 v17, v10, v11                            // 0000000095AC: D2680011 0002170A
	v_cvt_pk_bf16_f32 v18, v12, v13                            // 0000000095B4: D2680012 00021B0C
	v_cvt_pk_bf16_f32 v19, v14, v15                            // 0000000095BC: D2680013 00021F0E
	s_nop 1                                                    // 0000000095C4: BF800001
	v_permlane16_swap_b32_e32 v16, v18                         // 0000000095C8: 7E20B312
	s_nop 1                                                    // 0000000095CC: BF800001
	v_permlane16_swap_b32_e32 v17, v19                         // 0000000095D0: 7E22B313
	s_nop 1                                                    // 0000000095D4: BF800001
	buffer_store_dwordx4 v[16:19], v244, s[4:7], 0 offen       // 0000000095D8: E07C1000 800110F4
	v_add_i32 v244, v244, 64                                   // 0000000095E0: D29C00F4 000181F4
	v_accvgpr_read_b32 v8, a224                                // 0000000095E8: D3D84008 180001E0
	v_mul_f32_e32 v8, s41, v8                                  // 0000000095F0: 0A101029
	v_accvgpr_read_b32 v9, a225                                // 0000000095F4: D3D84009 180001E1
	v_mul_f32_e32 v9, s41, v9                                  // 0000000095FC: 0A121229
	v_accvgpr_read_b32 v10, a226                               // 000000009600: D3D8400A 180001E2
	v_mul_f32_e32 v10, s41, v10                                // 000000009608: 0A141429
	v_accvgpr_read_b32 v11, a227                               // 00000000960C: D3D8400B 180001E3
	v_mul_f32_e32 v11, s41, v11                                // 000000009614: 0A161629
	v_accvgpr_read_b32 v12, a240                               // 000000009618: D3D8400C 180001F0
	v_mul_f32_e32 v12, s41, v12                                // 000000009620: 0A181829
	v_accvgpr_read_b32 v13, a241                               // 000000009624: D3D8400D 180001F1
	v_mul_f32_e32 v13, s41, v13                                // 00000000962C: 0A1A1A29
	v_accvgpr_read_b32 v14, a242                               // 000000009630: D3D8400E 180001F2
	v_mul_f32_e32 v14, s41, v14                                // 000000009638: 0A1C1C29
	v_accvgpr_read_b32 v15, a243                               // 00000000963C: D3D8400F 180001F3
	v_mul_f32_e32 v15, s41, v15                                // 000000009644: 0A1E1E29
	v_cvt_pk_bf16_f32 v16, v8, v9                              // 000000009648: D2680010 00021308
	v_cvt_pk_bf16_f32 v17, v10, v11                            // 000000009650: D2680011 0002170A
	v_cvt_pk_bf16_f32 v18, v12, v13                            // 000000009658: D2680012 00021B0C
	v_cvt_pk_bf16_f32 v19, v14, v15                            // 000000009660: D2680013 00021F0E
	s_nop 1                                                    // 000000009668: BF800001
	v_permlane16_swap_b32_e32 v16, v18                         // 00000000966C: 7E20B312
	s_nop 1                                                    // 000000009670: BF800001
	v_permlane16_swap_b32_e32 v17, v19                         // 000000009674: 7E22B313
	s_nop 1                                                    // 000000009678: BF800001
	buffer_store_dwordx4 v[16:19], v244, s[4:7], 0 offen       // 00000000967C: E07C1000 800110F4
	v_add_i32 v244, v244, 64                                   // 000000009684: D29C00F4 000181F4
	s_mul_i32 s62, s36, 16                                     // 00000000968C: 923E9024
	v_add_u32_e32 v244, s62, v243                              // 000000009690: 69E9E63E
	v_accvgpr_read_b32 v8, a196                                // 000000009694: D3D84008 180001C4
	v_mul_f32_e32 v8, s41, v8                                  // 00000000969C: 0A101029
	v_accvgpr_read_b32 v9, a197                                // 0000000096A0: D3D84009 180001C5
	v_mul_f32_e32 v9, s41, v9                                  // 0000000096A8: 0A121229
	v_accvgpr_read_b32 v10, a198                               // 0000000096AC: D3D8400A 180001C6
	v_mul_f32_e32 v10, s41, v10                                // 0000000096B4: 0A141429
	v_accvgpr_read_b32 v11, a199                               // 0000000096B8: D3D8400B 180001C7
	v_mul_f32_e32 v11, s41, v11                                // 0000000096C0: 0A161629
	v_accvgpr_read_b32 v12, a212                               // 0000000096C4: D3D8400C 180001D4
	v_mul_f32_e32 v12, s41, v12                                // 0000000096CC: 0A181829
	v_accvgpr_read_b32 v13, a213                               // 0000000096D0: D3D8400D 180001D5
	v_mul_f32_e32 v13, s41, v13                                // 0000000096D8: 0A1A1A29
	v_accvgpr_read_b32 v14, a214                               // 0000000096DC: D3D8400E 180001D6
	v_mul_f32_e32 v14, s41, v14                                // 0000000096E4: 0A1C1C29
	v_accvgpr_read_b32 v15, a215                               // 0000000096E8: D3D8400F 180001D7
	v_mul_f32_e32 v15, s41, v15                                // 0000000096F0: 0A1E1E29
	v_cvt_pk_bf16_f32 v16, v8, v9                              // 0000000096F4: D2680010 00021308
	v_cvt_pk_bf16_f32 v17, v10, v11                            // 0000000096FC: D2680011 0002170A
	v_cvt_pk_bf16_f32 v18, v12, v13                            // 000000009704: D2680012 00021B0C
	v_cvt_pk_bf16_f32 v19, v14, v15                            // 00000000970C: D2680013 00021F0E
	s_nop 1                                                    // 000000009714: BF800001
	v_permlane16_swap_b32_e32 v16, v18                         // 000000009718: 7E20B312
	s_nop 1                                                    // 00000000971C: BF800001
	v_permlane16_swap_b32_e32 v17, v19                         // 000000009720: 7E22B313
	s_nop 1                                                    // 000000009724: BF800001
	buffer_store_dwordx4 v[16:19], v244, s[4:7], 0 offen       // 000000009728: E07C1000 800110F4
	v_add_i32 v244, v244, 64                                   // 000000009730: D29C00F4 000181F4
	v_accvgpr_read_b32 v8, a228                                // 000000009738: D3D84008 180001E4
	v_mul_f32_e32 v8, s41, v8                                  // 000000009740: 0A101029
	v_accvgpr_read_b32 v9, a229                                // 000000009744: D3D84009 180001E5
	v_mul_f32_e32 v9, s41, v9                                  // 00000000974C: 0A121229
	v_accvgpr_read_b32 v10, a230                               // 000000009750: D3D8400A 180001E6
	v_mul_f32_e32 v10, s41, v10                                // 000000009758: 0A141429
	v_accvgpr_read_b32 v11, a231                               // 00000000975C: D3D8400B 180001E7
	v_mul_f32_e32 v11, s41, v11                                // 000000009764: 0A161629
	v_accvgpr_read_b32 v12, a244                               // 000000009768: D3D8400C 180001F4
	v_mul_f32_e32 v12, s41, v12                                // 000000009770: 0A181829
	v_accvgpr_read_b32 v13, a245                               // 000000009774: D3D8400D 180001F5
	v_mul_f32_e32 v13, s41, v13                                // 00000000977C: 0A1A1A29
	v_accvgpr_read_b32 v14, a246                               // 000000009780: D3D8400E 180001F6
	v_mul_f32_e32 v14, s41, v14                                // 000000009788: 0A1C1C29
	v_accvgpr_read_b32 v15, a247                               // 00000000978C: D3D8400F 180001F7
	v_mul_f32_e32 v15, s41, v15                                // 000000009794: 0A1E1E29
	v_cvt_pk_bf16_f32 v16, v8, v9                              // 000000009798: D2680010 00021308
	v_cvt_pk_bf16_f32 v17, v10, v11                            // 0000000097A0: D2680011 0002170A
	v_cvt_pk_bf16_f32 v18, v12, v13                            // 0000000097A8: D2680012 00021B0C
	v_cvt_pk_bf16_f32 v19, v14, v15                            // 0000000097B0: D2680013 00021F0E
	s_nop 1                                                    // 0000000097B8: BF800001
	v_permlane16_swap_b32_e32 v16, v18                         // 0000000097BC: 7E20B312
	s_nop 1                                                    // 0000000097C0: BF800001
	v_permlane16_swap_b32_e32 v17, v19                         // 0000000097C4: 7E22B313
	s_nop 1                                                    // 0000000097C8: BF800001
	buffer_store_dwordx4 v[16:19], v244, s[4:7], 0 offen       // 0000000097CC: E07C1000 800110F4
	v_add_i32 v244, v244, 64                                   // 0000000097D4: D29C00F4 000181F4
	s_mul_i32 s62, s36, 32                                     // 0000000097DC: 923EA024
	v_add_u32_e32 v244, s62, v243                              // 0000000097E0: 69E9E63E
	v_accvgpr_read_b32 v8, a200                                // 0000000097E4: D3D84008 180001C8
	v_mul_f32_e32 v8, s41, v8                                  // 0000000097EC: 0A101029
	v_accvgpr_read_b32 v9, a201                                // 0000000097F0: D3D84009 180001C9
	v_mul_f32_e32 v9, s41, v9                                  // 0000000097F8: 0A121229
	v_accvgpr_read_b32 v10, a202                               // 0000000097FC: D3D8400A 180001CA
	v_mul_f32_e32 v10, s41, v10                                // 000000009804: 0A141429
	v_accvgpr_read_b32 v11, a203                               // 000000009808: D3D8400B 180001CB
	v_mul_f32_e32 v11, s41, v11                                // 000000009810: 0A161629
	v_accvgpr_read_b32 v12, a216                               // 000000009814: D3D8400C 180001D8
	v_mul_f32_e32 v12, s41, v12                                // 00000000981C: 0A181829
	v_accvgpr_read_b32 v13, a217                               // 000000009820: D3D8400D 180001D9
	v_mul_f32_e32 v13, s41, v13                                // 000000009828: 0A1A1A29
	v_accvgpr_read_b32 v14, a218                               // 00000000982C: D3D8400E 180001DA
	v_mul_f32_e32 v14, s41, v14                                // 000000009834: 0A1C1C29
	v_accvgpr_read_b32 v15, a219                               // 000000009838: D3D8400F 180001DB
	v_mul_f32_e32 v15, s41, v15                                // 000000009840: 0A1E1E29
	v_cvt_pk_bf16_f32 v16, v8, v9                              // 000000009844: D2680010 00021308
	v_cvt_pk_bf16_f32 v17, v10, v11                            // 00000000984C: D2680011 0002170A
	v_cvt_pk_bf16_f32 v18, v12, v13                            // 000000009854: D2680012 00021B0C
	v_cvt_pk_bf16_f32 v19, v14, v15                            // 00000000985C: D2680013 00021F0E
	s_nop 1                                                    // 000000009864: BF800001
	v_permlane16_swap_b32_e32 v16, v18                         // 000000009868: 7E20B312
	s_nop 1                                                    // 00000000986C: BF800001
	v_permlane16_swap_b32_e32 v17, v19                         // 000000009870: 7E22B313
	s_nop 1                                                    // 000000009874: BF800001
	buffer_store_dwordx4 v[16:19], v244, s[4:7], 0 offen       // 000000009878: E07C1000 800110F4
	v_add_i32 v244, v244, 64                                   // 000000009880: D29C00F4 000181F4
	v_accvgpr_read_b32 v8, a232                                // 000000009888: D3D84008 180001E8
	v_mul_f32_e32 v8, s41, v8                                  // 000000009890: 0A101029
	v_accvgpr_read_b32 v9, a233                                // 000000009894: D3D84009 180001E9
	v_mul_f32_e32 v9, s41, v9                                  // 00000000989C: 0A121229
	v_accvgpr_read_b32 v10, a234                               // 0000000098A0: D3D8400A 180001EA
	v_mul_f32_e32 v10, s41, v10                                // 0000000098A8: 0A141429
	v_accvgpr_read_b32 v11, a235                               // 0000000098AC: D3D8400B 180001EB
	v_mul_f32_e32 v11, s41, v11                                // 0000000098B4: 0A161629
	v_accvgpr_read_b32 v12, a248                               // 0000000098B8: D3D8400C 180001F8
	v_mul_f32_e32 v12, s41, v12                                // 0000000098C0: 0A181829
	v_accvgpr_read_b32 v13, a249                               // 0000000098C4: D3D8400D 180001F9
	v_mul_f32_e32 v13, s41, v13                                // 0000000098CC: 0A1A1A29
	v_accvgpr_read_b32 v14, a250                               // 0000000098D0: D3D8400E 180001FA
	v_mul_f32_e32 v14, s41, v14                                // 0000000098D8: 0A1C1C29
	v_accvgpr_read_b32 v15, a251                               // 0000000098DC: D3D8400F 180001FB
	v_mul_f32_e32 v15, s41, v15                                // 0000000098E4: 0A1E1E29
	v_cvt_pk_bf16_f32 v16, v8, v9                              // 0000000098E8: D2680010 00021308
	v_cvt_pk_bf16_f32 v17, v10, v11                            // 0000000098F0: D2680011 0002170A
	v_cvt_pk_bf16_f32 v18, v12, v13                            // 0000000098F8: D2680012 00021B0C
	v_cvt_pk_bf16_f32 v19, v14, v15                            // 000000009900: D2680013 00021F0E
	s_nop 1                                                    // 000000009908: BF800001
	v_permlane16_swap_b32_e32 v16, v18                         // 00000000990C: 7E20B312
	s_nop 1                                                    // 000000009910: BF800001
	v_permlane16_swap_b32_e32 v17, v19                         // 000000009914: 7E22B313
	s_nop 1                                                    // 000000009918: BF800001
	buffer_store_dwordx4 v[16:19], v244, s[4:7], 0 offen       // 00000000991C: E07C1000 800110F4
	v_add_i32 v244, v244, 64                                   // 000000009924: D29C00F4 000181F4
	s_mul_i32 s62, s36, 48                                     // 00000000992C: 923EB024
	v_add_u32_e32 v244, s62, v243                              // 000000009930: 69E9E63E
	v_accvgpr_read_b32 v8, a204                                // 000000009934: D3D84008 180001CC
	v_mul_f32_e32 v8, s41, v8                                  // 00000000993C: 0A101029
	v_accvgpr_read_b32 v9, a205                                // 000000009940: D3D84009 180001CD
	v_mul_f32_e32 v9, s41, v9                                  // 000000009948: 0A121229
	v_accvgpr_read_b32 v10, a206                               // 00000000994C: D3D8400A 180001CE
	v_mul_f32_e32 v10, s41, v10                                // 000000009954: 0A141429
	v_accvgpr_read_b32 v11, a207                               // 000000009958: D3D8400B 180001CF
	v_mul_f32_e32 v11, s41, v11                                // 000000009960: 0A161629
	v_accvgpr_read_b32 v12, a220                               // 000000009964: D3D8400C 180001DC
	v_mul_f32_e32 v12, s41, v12                                // 00000000996C: 0A181829
	v_accvgpr_read_b32 v13, a221                               // 000000009970: D3D8400D 180001DD
	v_mul_f32_e32 v13, s41, v13                                // 000000009978: 0A1A1A29
	v_accvgpr_read_b32 v14, a222                               // 00000000997C: D3D8400E 180001DE
	v_mul_f32_e32 v14, s41, v14                                // 000000009984: 0A1C1C29
	v_accvgpr_read_b32 v15, a223                               // 000000009988: D3D8400F 180001DF
	v_mul_f32_e32 v15, s41, v15                                // 000000009990: 0A1E1E29
	v_cvt_pk_bf16_f32 v16, v8, v9                              // 000000009994: D2680010 00021308
	v_cvt_pk_bf16_f32 v17, v10, v11                            // 00000000999C: D2680011 0002170A
	v_cvt_pk_bf16_f32 v18, v12, v13                            // 0000000099A4: D2680012 00021B0C
	v_cvt_pk_bf16_f32 v19, v14, v15                            // 0000000099AC: D2680013 00021F0E
	s_nop 1                                                    // 0000000099B4: BF800001
	v_permlane16_swap_b32_e32 v16, v18                         // 0000000099B8: 7E20B312
	s_nop 1                                                    // 0000000099BC: BF800001
	v_permlane16_swap_b32_e32 v17, v19                         // 0000000099C0: 7E22B313
	s_nop 1                                                    // 0000000099C4: BF800001
	buffer_store_dwordx4 v[16:19], v244, s[4:7], 0 offen       // 0000000099C8: E07C1000 800110F4
	v_add_i32 v244, v244, 64                                   // 0000000099D0: D29C00F4 000181F4
	v_accvgpr_read_b32 v8, a236                                // 0000000099D8: D3D84008 180001EC
	v_mul_f32_e32 v8, s41, v8                                  // 0000000099E0: 0A101029
	v_accvgpr_read_b32 v9, a237                                // 0000000099E4: D3D84009 180001ED
	v_mul_f32_e32 v9, s41, v9                                  // 0000000099EC: 0A121229
	v_accvgpr_read_b32 v10, a238                               // 0000000099F0: D3D8400A 180001EE
	v_mul_f32_e32 v10, s41, v10                                // 0000000099F8: 0A141429
	v_accvgpr_read_b32 v11, a239                               // 0000000099FC: D3D8400B 180001EF
	v_mul_f32_e32 v11, s41, v11                                // 000000009A04: 0A161629
	v_accvgpr_read_b32 v12, a252                               // 000000009A08: D3D8400C 180001FC
	v_mul_f32_e32 v12, s41, v12                                // 000000009A10: 0A181829
	v_accvgpr_read_b32 v13, a253                               // 000000009A14: D3D8400D 180001FD
	v_mul_f32_e32 v13, s41, v13                                // 000000009A1C: 0A1A1A29
	v_accvgpr_read_b32 v14, a254                               // 000000009A20: D3D8400E 180001FE
	v_mul_f32_e32 v14, s41, v14                                // 000000009A28: 0A1C1C29
	v_accvgpr_read_b32 v15, a255                               // 000000009A2C: D3D8400F 180001FF
	v_mul_f32_e32 v15, s41, v15                                // 000000009A34: 0A1E1E29
	v_cvt_pk_bf16_f32 v16, v8, v9                              // 000000009A38: D2680010 00021308
	v_cvt_pk_bf16_f32 v17, v10, v11                            // 000000009A40: D2680011 0002170A
	v_cvt_pk_bf16_f32 v18, v12, v13                            // 000000009A48: D2680012 00021B0C
	v_cvt_pk_bf16_f32 v19, v14, v15                            // 000000009A50: D2680013 00021F0E
	s_nop 1                                                    // 000000009A58: BF800001
	v_permlane16_swap_b32_e32 v16, v18                         // 000000009A5C: 7E20B312
	s_nop 1                                                    // 000000009A60: BF800001
	v_permlane16_swap_b32_e32 v17, v19                         // 000000009A64: 7E22B313
	s_nop 1                                                    // 000000009A68: BF800001
	buffer_store_dwordx4 v[16:19], v244, s[4:7], 0 offen       // 000000009A6C: E07C1000 800110F4
	v_add_i32 v244, v244, 64                                   // 000000009A74: D29C00F4 000181F4

0000000000009a7c <label_1BA0>:
	s_waitcnt vmcnt(0) expcnt(0) lgkmcnt(0)                    // 000000009A7C: BF8C0000
	s_endpgm                                                   // 000000009A80: BF810000
